;; amdgpu-corpus repo=ROCm/rocFFT kind=compiled arch=gfx1030 opt=O3
	.text
	.amdgcn_target "amdgcn-amd-amdhsa--gfx1030"
	.amdhsa_code_object_version 6
	.protected	fft_rtc_back_len1785_factors_17_3_5_7_wgs_119_tpt_119_halfLds_dp_op_CI_CI_sbrr_dirReg ; -- Begin function fft_rtc_back_len1785_factors_17_3_5_7_wgs_119_tpt_119_halfLds_dp_op_CI_CI_sbrr_dirReg
	.globl	fft_rtc_back_len1785_factors_17_3_5_7_wgs_119_tpt_119_halfLds_dp_op_CI_CI_sbrr_dirReg
	.p2align	8
	.type	fft_rtc_back_len1785_factors_17_3_5_7_wgs_119_tpt_119_halfLds_dp_op_CI_CI_sbrr_dirReg,@function
fft_rtc_back_len1785_factors_17_3_5_7_wgs_119_tpt_119_halfLds_dp_op_CI_CI_sbrr_dirReg: ; @fft_rtc_back_len1785_factors_17_3_5_7_wgs_119_tpt_119_halfLds_dp_op_CI_CI_sbrr_dirReg
; %bb.0:
	s_clause 0x2
	s_load_dwordx4 s[16:19], s[4:5], 0x18
	s_load_dwordx4 s[8:11], s[4:5], 0x0
	;; [unrolled: 1-line block ×3, first 2 shown]
	v_mul_u32_u24_e32 v1, 0x227, v0
	v_mov_b32_e32 v3, 0
	s_waitcnt lgkmcnt(0)
	s_load_dwordx2 s[20:21], s[16:17], 0x0
	s_load_dwordx2 s[2:3], s[18:19], 0x0
	v_cmp_lt_u64_e64 s0, s[10:11], 2
	v_add_nc_u32_sdwa v5, s6, v1 dst_sel:DWORD dst_unused:UNUSED_PAD src0_sel:DWORD src1_sel:WORD_1
	v_mov_b32_e32 v1, 0
	v_mov_b32_e32 v6, v3
	;; [unrolled: 1-line block ×3, first 2 shown]
	s_and_b32 vcc_lo, exec_lo, s0
	s_cbranch_vccnz .LBB0_8
; %bb.1:
	s_load_dwordx2 s[0:1], s[4:5], 0x10
	v_mov_b32_e32 v1, 0
	v_mov_b32_e32 v2, 0
	s_add_u32 s6, s18, 8
	s_addc_u32 s7, s19, 0
	s_add_u32 s22, s16, 8
	s_addc_u32 s23, s17, 0
	v_mov_b32_e32 v129, v2
	v_mov_b32_e32 v128, v1
	s_mov_b64 s[26:27], 1
	s_waitcnt lgkmcnt(0)
	s_add_u32 s24, s0, 8
	s_addc_u32 s25, s1, 0
.LBB0_2:                                ; =>This Inner Loop Header: Depth=1
	s_load_dwordx2 s[28:29], s[24:25], 0x0
                                        ; implicit-def: $vgpr130_vgpr131
	s_mov_b32 s0, exec_lo
	s_waitcnt lgkmcnt(0)
	v_or_b32_e32 v4, s29, v6
	v_cmpx_ne_u64_e32 0, v[3:4]
	s_xor_b32 s1, exec_lo, s0
	s_cbranch_execz .LBB0_4
; %bb.3:                                ;   in Loop: Header=BB0_2 Depth=1
	v_cvt_f32_u32_e32 v4, s28
	v_cvt_f32_u32_e32 v7, s29
	s_sub_u32 s0, 0, s28
	s_subb_u32 s30, 0, s29
	v_fmac_f32_e32 v4, 0x4f800000, v7
	v_rcp_f32_e32 v4, v4
	v_mul_f32_e32 v4, 0x5f7ffffc, v4
	v_mul_f32_e32 v7, 0x2f800000, v4
	v_trunc_f32_e32 v7, v7
	v_fmac_f32_e32 v4, 0xcf800000, v7
	v_cvt_u32_f32_e32 v7, v7
	v_cvt_u32_f32_e32 v4, v4
	v_mul_lo_u32 v8, s0, v7
	v_mul_hi_u32 v9, s0, v4
	v_mul_lo_u32 v10, s30, v4
	v_add_nc_u32_e32 v8, v9, v8
	v_mul_lo_u32 v9, s0, v4
	v_add_nc_u32_e32 v8, v8, v10
	v_mul_hi_u32 v10, v4, v9
	v_mul_lo_u32 v11, v4, v8
	v_mul_hi_u32 v12, v4, v8
	v_mul_hi_u32 v13, v7, v9
	v_mul_lo_u32 v9, v7, v9
	v_mul_hi_u32 v14, v7, v8
	v_mul_lo_u32 v8, v7, v8
	v_add_co_u32 v10, vcc_lo, v10, v11
	v_add_co_ci_u32_e32 v11, vcc_lo, 0, v12, vcc_lo
	v_add_co_u32 v9, vcc_lo, v10, v9
	v_add_co_ci_u32_e32 v9, vcc_lo, v11, v13, vcc_lo
	v_add_co_ci_u32_e32 v10, vcc_lo, 0, v14, vcc_lo
	v_add_co_u32 v8, vcc_lo, v9, v8
	v_add_co_ci_u32_e32 v9, vcc_lo, 0, v10, vcc_lo
	v_add_co_u32 v4, vcc_lo, v4, v8
	v_add_co_ci_u32_e32 v7, vcc_lo, v7, v9, vcc_lo
	v_mul_hi_u32 v8, s0, v4
	v_mul_lo_u32 v10, s30, v4
	v_mul_lo_u32 v9, s0, v7
	v_add_nc_u32_e32 v8, v8, v9
	v_mul_lo_u32 v9, s0, v4
	v_add_nc_u32_e32 v8, v8, v10
	v_mul_hi_u32 v10, v4, v9
	v_mul_lo_u32 v11, v4, v8
	v_mul_hi_u32 v12, v4, v8
	v_mul_hi_u32 v13, v7, v9
	v_mul_lo_u32 v9, v7, v9
	v_mul_hi_u32 v14, v7, v8
	v_mul_lo_u32 v8, v7, v8
	v_add_co_u32 v10, vcc_lo, v10, v11
	v_add_co_ci_u32_e32 v11, vcc_lo, 0, v12, vcc_lo
	v_add_co_u32 v9, vcc_lo, v10, v9
	v_add_co_ci_u32_e32 v9, vcc_lo, v11, v13, vcc_lo
	v_add_co_ci_u32_e32 v10, vcc_lo, 0, v14, vcc_lo
	v_add_co_u32 v8, vcc_lo, v9, v8
	v_add_co_ci_u32_e32 v9, vcc_lo, 0, v10, vcc_lo
	v_add_co_u32 v4, vcc_lo, v4, v8
	v_add_co_ci_u32_e32 v11, vcc_lo, v7, v9, vcc_lo
	v_mul_hi_u32 v13, v5, v4
	v_mad_u64_u32 v[9:10], null, v6, v4, 0
	v_mad_u64_u32 v[7:8], null, v5, v11, 0
	v_mad_u64_u32 v[11:12], null, v6, v11, 0
	v_add_co_u32 v4, vcc_lo, v13, v7
	v_add_co_ci_u32_e32 v7, vcc_lo, 0, v8, vcc_lo
	v_add_co_u32 v4, vcc_lo, v4, v9
	v_add_co_ci_u32_e32 v4, vcc_lo, v7, v10, vcc_lo
	v_add_co_ci_u32_e32 v7, vcc_lo, 0, v12, vcc_lo
	v_add_co_u32 v4, vcc_lo, v4, v11
	v_add_co_ci_u32_e32 v9, vcc_lo, 0, v7, vcc_lo
	v_mul_lo_u32 v10, s29, v4
	v_mad_u64_u32 v[7:8], null, s28, v4, 0
	v_mul_lo_u32 v11, s28, v9
	v_sub_co_u32 v7, vcc_lo, v5, v7
	v_add3_u32 v8, v8, v11, v10
	v_sub_nc_u32_e32 v10, v6, v8
	v_subrev_co_ci_u32_e64 v10, s0, s29, v10, vcc_lo
	v_add_co_u32 v11, s0, v4, 2
	v_add_co_ci_u32_e64 v12, s0, 0, v9, s0
	v_sub_co_u32 v13, s0, v7, s28
	v_sub_co_ci_u32_e32 v8, vcc_lo, v6, v8, vcc_lo
	v_subrev_co_ci_u32_e64 v10, s0, 0, v10, s0
	v_cmp_le_u32_e32 vcc_lo, s28, v13
	v_cmp_eq_u32_e64 s0, s29, v8
	v_cndmask_b32_e64 v13, 0, -1, vcc_lo
	v_cmp_le_u32_e32 vcc_lo, s29, v10
	v_cndmask_b32_e64 v14, 0, -1, vcc_lo
	v_cmp_le_u32_e32 vcc_lo, s28, v7
	;; [unrolled: 2-line block ×3, first 2 shown]
	v_cndmask_b32_e64 v15, 0, -1, vcc_lo
	v_cmp_eq_u32_e32 vcc_lo, s29, v10
	v_cndmask_b32_e64 v7, v15, v7, s0
	v_cndmask_b32_e32 v10, v14, v13, vcc_lo
	v_add_co_u32 v13, vcc_lo, v4, 1
	v_add_co_ci_u32_e32 v14, vcc_lo, 0, v9, vcc_lo
	v_cmp_ne_u32_e32 vcc_lo, 0, v10
	v_cndmask_b32_e32 v8, v14, v12, vcc_lo
	v_cndmask_b32_e32 v10, v13, v11, vcc_lo
	v_cmp_ne_u32_e32 vcc_lo, 0, v7
	v_cndmask_b32_e32 v131, v9, v8, vcc_lo
	v_cndmask_b32_e32 v130, v4, v10, vcc_lo
.LBB0_4:                                ;   in Loop: Header=BB0_2 Depth=1
	s_andn2_saveexec_b32 s0, s1
	s_cbranch_execz .LBB0_6
; %bb.5:                                ;   in Loop: Header=BB0_2 Depth=1
	v_cvt_f32_u32_e32 v4, s28
	s_sub_i32 s1, 0, s28
	v_mov_b32_e32 v131, v3
	v_rcp_iflag_f32_e32 v4, v4
	v_mul_f32_e32 v4, 0x4f7ffffe, v4
	v_cvt_u32_f32_e32 v4, v4
	v_mul_lo_u32 v7, s1, v4
	v_mul_hi_u32 v7, v4, v7
	v_add_nc_u32_e32 v4, v4, v7
	v_mul_hi_u32 v4, v5, v4
	v_mul_lo_u32 v7, v4, s28
	v_add_nc_u32_e32 v8, 1, v4
	v_sub_nc_u32_e32 v7, v5, v7
	v_subrev_nc_u32_e32 v9, s28, v7
	v_cmp_le_u32_e32 vcc_lo, s28, v7
	v_cndmask_b32_e32 v7, v7, v9, vcc_lo
	v_cndmask_b32_e32 v4, v4, v8, vcc_lo
	v_cmp_le_u32_e32 vcc_lo, s28, v7
	v_add_nc_u32_e32 v8, 1, v4
	v_cndmask_b32_e32 v130, v4, v8, vcc_lo
.LBB0_6:                                ;   in Loop: Header=BB0_2 Depth=1
	s_or_b32 exec_lo, exec_lo, s0
	v_mul_lo_u32 v4, v131, s28
	v_mul_lo_u32 v9, v130, s29
	s_load_dwordx2 s[0:1], s[22:23], 0x0
	v_mad_u64_u32 v[7:8], null, v130, s28, 0
	s_load_dwordx2 s[28:29], s[6:7], 0x0
	s_add_u32 s26, s26, 1
	s_addc_u32 s27, s27, 0
	s_add_u32 s6, s6, 8
	s_addc_u32 s7, s7, 0
	s_add_u32 s22, s22, 8
	v_add3_u32 v4, v8, v9, v4
	v_sub_co_u32 v5, vcc_lo, v5, v7
	s_addc_u32 s23, s23, 0
	s_add_u32 s24, s24, 8
	v_sub_co_ci_u32_e32 v4, vcc_lo, v6, v4, vcc_lo
	s_addc_u32 s25, s25, 0
	s_waitcnt lgkmcnt(0)
	v_mul_lo_u32 v6, s0, v4
	v_mul_lo_u32 v7, s1, v5
	v_mad_u64_u32 v[1:2], null, s0, v5, v[1:2]
	v_mul_lo_u32 v4, s28, v4
	v_mul_lo_u32 v8, s29, v5
	v_mad_u64_u32 v[128:129], null, s28, v5, v[128:129]
	v_cmp_ge_u64_e64 s0, s[26:27], s[10:11]
	v_add3_u32 v2, v7, v2, v6
	v_add3_u32 v129, v8, v129, v4
	s_and_b32 vcc_lo, exec_lo, s0
	s_cbranch_vccnz .LBB0_9
; %bb.7:                                ;   in Loop: Header=BB0_2 Depth=1
	v_mov_b32_e32 v5, v130
	v_mov_b32_e32 v6, v131
	s_branch .LBB0_2
.LBB0_8:
	v_mov_b32_e32 v129, v2
	v_mov_b32_e32 v131, v6
	;; [unrolled: 1-line block ×4, first 2 shown]
.LBB0_9:
	s_load_dwordx2 s[0:1], s[4:5], 0x28
	v_mul_hi_u32 v3, 0x226b903, v0
	s_lshl_b64 s[6:7], s[10:11], 3
                                        ; implicit-def: $vgpr14_vgpr15
                                        ; implicit-def: $vgpr18_vgpr19
                                        ; implicit-def: $vgpr22_vgpr23
                                        ; implicit-def: $vgpr26_vgpr27
                                        ; implicit-def: $vgpr30_vgpr31
                                        ; implicit-def: $vgpr34_vgpr35
                                        ; implicit-def: $vgpr38_vgpr39
                                        ; implicit-def: $vgpr42_vgpr43
                                        ; implicit-def: $vgpr46_vgpr47
                                        ; implicit-def: $vgpr50_vgpr51
                                        ; implicit-def: $vgpr58_vgpr59
                                        ; implicit-def: $vgpr62_vgpr63
                                        ; implicit-def: $vgpr66_vgpr67
                                        ; implicit-def: $vgpr54_vgpr55
                                        ; implicit-def: $vgpr70_vgpr71
                                        ; implicit-def: $vgpr74_vgpr75
                                        ; implicit-def: $vgpr8_vgpr9
	s_add_u32 s4, s18, s6
	s_addc_u32 s5, s19, s7
	v_mul_u32_u24_e32 v3, 0x77, v3
	v_sub_nc_u32_e32 v142, v0, v3
	s_waitcnt lgkmcnt(0)
	v_cmp_gt_u64_e32 vcc_lo, s[0:1], v[130:131]
	v_cmp_gt_u32_e64 s0, 0x69, v142
	s_and_b32 s1, vcc_lo, s0
	s_and_saveexec_b32 s10, s1
	s_cbranch_execz .LBB0_11
; %bb.10:
	s_add_u32 s6, s16, s6
	s_addc_u32 s7, s17, s7
	v_mad_u64_u32 v[3:4], null, s20, v142, 0
	s_load_dwordx2 s[6:7], s[6:7], 0x0
	v_add_nc_u32_e32 v16, 0x69, v142
	v_add_nc_u32_e32 v18, 0xd2, v142
	v_lshlrev_b64 v[0:1], 4, v[1:2]
	v_add_nc_u32_e32 v19, 0x13b, v142
	v_add_nc_u32_e32 v20, 0x1a4, v142
	v_mad_u64_u32 v[5:6], null, s20, v16, 0
	v_mad_u64_u32 v[7:8], null, s20, v18, 0
	v_mov_b32_e32 v2, v4
	v_mad_u64_u32 v[9:10], null, s20, v19, 0
	v_add_nc_u32_e32 v23, 0x41a, v142
	v_add_nc_u32_e32 v25, 0x483, v142
	v_mad_u64_u32 v[13:14], null, s21, v142, v[2:3]
	v_mov_b32_e32 v2, v6
	v_mov_b32_e32 v6, v8
	;; [unrolled: 1-line block ×3, first 2 shown]
	s_waitcnt lgkmcnt(0)
	v_mul_lo_u32 v4, s7, v130
	v_mul_lo_u32 v17, s6, v131
	v_mad_u64_u32 v[11:12], null, s6, v130, 0
	v_mad_u64_u32 v[14:15], null, s20, v20, 0
	;; [unrolled: 1-line block ×3, first 2 shown]
	v_add_nc_u32_e32 v27, 0x4ec, v142
	v_add_nc_u32_e32 v29, 0x555, v142
	v_add3_u32 v12, v12, v17, v4
	v_mad_u64_u32 v[16:17], null, s21, v16, v[2:3]
	v_mad_u64_u32 v[17:18], null, s21, v18, v[6:7]
	v_lshlrev_b64 v[10:11], 4, v[11:12]
	v_mov_b32_e32 v4, v13
	v_mad_u64_u32 v[12:13], null, s21, v19, v[8:9]
	v_mov_b32_e32 v6, v16
	v_add_nc_u32_e32 v18, 0x20d, v142
	v_lshlrev_b64 v[2:3], 4, v[3:4]
	v_add_co_u32 v4, s1, s12, v10
	v_add_co_ci_u32_e64 v10, s1, s13, v11, s1
	v_mov_b32_e32 v8, v17
	v_add_co_u32 v33, s1, v4, v0
	v_add_co_ci_u32_e64 v34, s1, v10, v1, s1
	v_lshlrev_b64 v[0:1], 4, v[5:6]
	v_lshlrev_b64 v[5:6], 4, v[7:8]
	v_mov_b32_e32 v10, v12
	v_mov_b32_e32 v4, v15
	v_add_co_u32 v2, s1, v33, v2
	v_add_co_ci_u32_e64 v3, s1, v34, v3, s1
	v_lshlrev_b64 v[7:8], 4, v[9:10]
	v_mad_u64_u32 v[9:10], null, s21, v20, v[4:5]
	v_mad_u64_u32 v[10:11], null, s20, v18, 0
	v_add_co_u32 v0, s1, v33, v0
	v_add_co_ci_u32_e64 v1, s1, v34, v1, s1
	v_add_co_u32 v4, s1, v33, v5
	v_add_co_ci_u32_e64 v5, s1, v34, v6, s1
	v_mov_b32_e32 v6, v11
	v_add_co_u32 v12, s1, v33, v7
	v_add_co_ci_u32_e64 v13, s1, v34, v8, s1
	v_mov_b32_e32 v15, v9
	v_mad_u64_u32 v[18:19], null, s21, v18, v[6:7]
	s_clause 0x3
	global_load_dwordx4 v[6:9], v[2:3], off
	global_load_dwordx4 v[72:75], v[0:1], off
	;; [unrolled: 1-line block ×4, first 2 shown]
	v_add_nc_u32_e32 v20, 0x276, v142
	v_add_nc_u32_e32 v5, 0x2df, v142
	v_lshlrev_b64 v[0:1], 4, v[14:15]
	v_add_nc_u32_e32 v30, 0x5be, v142
	v_add_nc_u32_e32 v35, 0x627, v142
	v_mad_u64_u32 v[16:17], null, s20, v20, 0
	v_mad_u64_u32 v[3:4], null, s20, v5, 0
	v_mov_b32_e32 v11, v18
	v_add_nc_u32_e32 v18, 0x348, v142
	v_add_co_u32 v0, s1, v33, v0
	v_mov_b32_e32 v2, v17
	v_lshlrev_b64 v[10:11], 4, v[10:11]
	v_add_co_ci_u32_e64 v1, s1, v34, v1, s1
	v_mad_u64_u32 v[12:13], null, s21, v20, v[2:3]
	v_mad_u64_u32 v[13:14], null, s20, v18, 0
	v_mov_b32_e32 v2, v4
	v_add_co_u32 v10, s1, v33, v10
	v_add_co_ci_u32_e64 v11, s1, v34, v11, s1
	v_mov_b32_e32 v17, v12
	v_mad_u64_u32 v[4:5], null, s21, v5, v[2:3]
	v_mov_b32_e32 v2, v14
	v_add_nc_u32_e32 v5, 0x3b1, v142
	v_lshlrev_b64 v[14:15], 4, v[16:17]
	s_clause 0x1
	global_load_dwordx4 v[64:67], v[0:1], off
	global_load_dwordx4 v[60:63], v[10:11], off
	v_mad_u64_u32 v[16:17], null, s21, v18, v[2:3]
	v_mad_u64_u32 v[17:18], null, s20, v5, 0
	v_add_co_u32 v19, s1, v33, v14
	v_add_co_ci_u32_e64 v20, s1, v34, v15, s1
	v_lshlrev_b64 v[2:3], 4, v[3:4]
	v_mov_b32_e32 v14, v16
	v_mov_b32_e32 v4, v18
	v_mad_u64_u32 v[15:16], null, s20, v23, 0
	v_lshlrev_b64 v[12:13], 4, v[13:14]
	v_mad_u64_u32 v[4:5], null, s21, v5, v[4:5]
	v_add_co_u32 v2, s1, v33, v2
	v_mov_b32_e32 v5, v16
	v_add_co_ci_u32_e64 v3, s1, v34, v3, s1
	v_add_co_u32 v12, s1, v33, v12
	v_mov_b32_e32 v18, v4
	v_add_co_ci_u32_e64 v13, s1, v34, v13, s1
	s_clause 0x1
	global_load_dwordx4 v[56:59], v[19:20], off
	global_load_dwordx4 v[48:51], v[2:3], off
	v_lshlrev_b64 v[17:18], 4, v[17:18]
	v_add_co_u32 v17, s1, v33, v17
	v_add_co_ci_u32_e64 v18, s1, v34, v18, s1
	s_clause 0x1
	global_load_dwordx4 v[44:47], v[12:13], off
	global_load_dwordx4 v[40:43], v[17:18], off
	s_waitcnt vmcnt(9)
	v_mad_u64_u32 v[4:5], null, s21, v23, v[5:6]
	v_mov_b32_e32 v5, v22
	v_mad_u64_u32 v[23:24], null, s20, v27, 0
	v_mad_u64_u32 v[25:26], null, s21, v25, v[5:6]
	v_mov_b32_e32 v16, v4
	v_mov_b32_e32 v4, v24
	v_lshlrev_b64 v[14:15], 4, v[15:16]
	v_mov_b32_e32 v22, v25
	v_mad_u64_u32 v[4:5], null, s21, v27, v[4:5]
	v_mad_u64_u32 v[25:26], null, s20, v29, 0
	v_lshlrev_b64 v[21:22], 4, v[21:22]
	v_mad_u64_u32 v[27:28], null, s20, v30, 0
	v_add_co_u32 v14, s1, v33, v14
	v_mov_b32_e32 v24, v4
	v_add_co_ci_u32_e64 v15, s1, v34, v15, s1
	v_add_co_u32 v4, s1, v33, v21
	v_mov_b32_e32 v16, v26
	v_add_co_ci_u32_e64 v5, s1, v34, v22, s1
	v_lshlrev_b64 v[21:22], 4, v[23:24]
	v_mov_b32_e32 v23, v28
	v_mad_u64_u32 v[28:29], null, s21, v29, v[16:17]
	v_mad_u64_u32 v[23:24], null, s21, v30, v[23:24]
	;; [unrolled: 1-line block ×3, first 2 shown]
	v_add_nc_u32_e32 v24, 0x690, v142
	v_mov_b32_e32 v26, v28
	v_add_co_u32 v21, s1, v33, v21
	v_mov_b32_e32 v28, v23
	v_mad_u64_u32 v[31:32], null, s20, v24, 0
	v_mov_b32_e32 v16, v30
	v_lshlrev_b64 v[2:3], 4, v[25:26]
	v_lshlrev_b64 v[19:20], 4, v[27:28]
	v_add_co_ci_u32_e64 v22, s1, v34, v22, s1
	v_mad_u64_u32 v[0:1], null, s21, v35, v[16:17]
	v_mov_b32_e32 v1, v32
	v_mad_u64_u32 v[10:11], null, s21, v24, v[1:2]
	v_mov_b32_e32 v30, v0
	v_add_co_u32 v0, s1, v33, v2
	v_add_co_ci_u32_e64 v1, s1, v34, v3, s1
	v_lshlrev_b64 v[2:3], 4, v[29:30]
	v_mov_b32_e32 v32, v10
	v_add_co_u32 v10, s1, v33, v19
	v_add_co_ci_u32_e64 v11, s1, v34, v20, s1
	v_lshlrev_b64 v[19:20], 4, v[31:32]
	v_add_co_u32 v2, s1, v33, v2
	v_add_co_ci_u32_e64 v3, s1, v34, v3, s1
	v_add_co_u32 v12, s1, v33, v19
	v_add_co_ci_u32_e64 v13, s1, v34, v20, s1
	s_clause 0x6
	global_load_dwordx4 v[36:39], v[14:15], off
	global_load_dwordx4 v[32:35], v[4:5], off
	;; [unrolled: 1-line block ×7, first 2 shown]
.LBB0_11:
	s_or_b32 exec_lo, exec_lo, s10
	s_waitcnt vmcnt(0)
	v_add_f64 v[138:139], v[74:75], -v[14:15]
	s_mov_b32 s26, 0x5d8e7cdc
	s_mov_b32 s34, 0x2a9d6da3
	;; [unrolled: 1-line block ×4, first 2 shown]
	v_add_f64 v[0:1], v[12:13], v[72:73]
	v_add_f64 v[136:137], v[70:71], -v[18:19]
	s_mov_b32 s6, 0x370991
	s_mov_b32 s10, 0x75d4884
	;; [unrolled: 1-line block ×6, first 2 shown]
	v_add_f64 v[82:83], v[16:17], v[68:69]
	v_add_f64 v[134:135], v[54:55], -v[22:23]
	s_mov_b32 s12, 0x3259b75e
	s_mov_b32 s38, 0x7c9e640b
	;; [unrolled: 1-line block ×6, first 2 shown]
	v_add_f64 v[86:87], v[20:21], v[52:53]
	v_mul_f64 v[78:79], v[138:139], s[26:27]
	v_mul_f64 v[88:89], v[138:139], s[34:35]
	v_add_f64 v[126:127], v[66:67], -v[26:27]
	s_mov_b32 s16, 0x2b2883cd
	s_mov_b32 s18, 0x6ed5f1bb
	;; [unrolled: 1-line block ×3, first 2 shown]
	v_mul_f64 v[84:85], v[136:137], s[34:35]
	v_mul_f64 v[94:95], v[136:137], s[36:37]
	s_mov_b32 s17, 0x3fdc86fa
	s_mov_b32 s19, 0xbfe348c8
	;; [unrolled: 1-line block ×3, first 2 shown]
	v_add_f64 v[90:91], v[24:25], v[64:65]
	v_add_f64 v[122:123], v[62:63], -v[30:31]
	s_mov_b32 s20, 0x7faef3
	v_mul_f64 v[92:93], v[134:135], s[38:39]
	v_mul_f64 v[102:103], v[134:135], s[28:29]
	s_mov_b32 s40, 0x923c349f
	s_mov_b32 s42, 0x4363dd80
	;; [unrolled: 1-line block ×5, first 2 shown]
	v_add_f64 v[100:101], v[28:29], v[60:61]
	v_fma_f64 v[2:3], v[0:1], s[6:7], -v[78:79]
	v_fma_f64 v[4:5], v[0:1], s[10:11], -v[88:89]
	v_mul_f64 v[98:99], v[126:127], s[36:37]
	v_mul_f64 v[108:109], v[126:127], s[30:31]
	v_add_f64 v[124:125], v[58:59], -v[34:35]
	s_mov_b32 s22, 0xc61f0d01
	v_fma_f64 v[10:11], v[82:83], s[10:11], -v[84:85]
	v_fma_f64 v[76:77], v[82:83], s[12:13], -v[94:95]
	s_mov_b32 s24, 0x910ea3b9
	s_mov_b32 s23, 0xbfd183b1
	;; [unrolled: 1-line block ×4, first 2 shown]
	v_mul_f64 v[104:105], v[122:123], s[40:41]
	v_mul_f64 v[114:115], v[122:123], s[42:43]
	v_fma_f64 v[80:81], v[86:87], s[16:17], -v[92:93]
	v_fma_f64 v[96:97], v[86:87], s[18:19], -v[102:103]
	s_mov_b32 s44, s40
	v_add_f64 v[106:107], v[32:33], v[56:57]
	v_add_f64 v[132:133], v[50:51], -v[38:39]
	s_mov_b32 s47, 0xbfe0d888
	s_mov_b32 s49, 0x3feca52d
	;; [unrolled: 1-line block ×3, first 2 shown]
	v_add_f64 v[2:3], v[6:7], v[2:3]
	v_add_f64 v[4:5], v[6:7], v[4:5]
	s_mov_b32 s48, s38
	v_add_f64 v[112:113], v[36:37], v[48:49]
	v_mul_f64 v[110:111], v[124:125], s[28:29]
	v_mul_f64 v[118:119], v[124:125], s[44:45]
	s_mov_b32 s51, 0x3fd71e95
	s_mov_b32 s50, s26
	v_mul_f64 v[116:117], v[132:133], s[46:47]
	v_mul_f64 v[120:121], v[132:133], s[48:49]
	v_add_f64 v[2:3], v[10:11], v[2:3]
	v_add_f64 v[4:5], v[76:77], v[4:5]
	v_fma_f64 v[10:11], v[90:91], s[12:13], -v[98:99]
	v_fma_f64 v[76:77], v[90:91], s[20:21], -v[108:109]
	;; [unrolled: 1-line block ×6, first 2 shown]
	v_add_f64 v[2:3], v[80:81], v[2:3]
	v_add_f64 v[4:5], v[96:97], v[4:5]
	v_fma_f64 v[80:81], v[100:101], s[22:23], -v[104:105]
	v_fma_f64 v[96:97], v[100:101], s[24:25], -v[114:115]
	v_add_f64 v[2:3], v[10:11], v[2:3]
	v_add_f64 v[4:5], v[76:77], v[4:5]
	v_add_f64 v[10:11], v[46:47], -v[42:43]
	v_add_f64 v[2:3], v[80:81], v[2:3]
	v_add_f64 v[4:5], v[96:97], v[4:5]
	;; [unrolled: 1-line block ×3, first 2 shown]
	v_mul_f64 v[76:77], v[10:11], s[30:31]
	v_mul_f64 v[80:81], v[10:11], s[50:51]
	v_add_f64 v[2:3], v[140:141], v[2:3]
	v_add_f64 v[4:5], v[143:144], v[4:5]
	v_fma_f64 v[140:141], v[96:97], s[20:21], -v[76:77]
	v_fma_f64 v[143:144], v[96:97], s[6:7], -v[80:81]
	v_add_f64 v[2:3], v[145:146], v[2:3]
	v_add_f64 v[145:146], v[147:148], v[4:5]
	;; [unrolled: 1-line block ×4, first 2 shown]
	s_and_saveexec_b32 s1, s0
	s_cbranch_execz .LBB0_13
; %bb.12:
	v_mul_f64 v[140:141], v[0:1], s[20:21]
	s_mov_b32 s55, 0x3fc7851a
	s_mov_b32 s54, s30
	v_mul_f64 v[143:144], v[0:1], s[24:25]
	v_mul_f64 v[145:146], v[82:83], s[6:7]
	;; [unrolled: 1-line block ×4, first 2 shown]
	s_mov_b32 s53, 0x3fe9895b
	s_mov_b32 s52, s28
	v_mul_f64 v[153:154], v[82:83], s[16:17]
	v_mul_f64 v[155:156], v[0:1], s[12:13]
	;; [unrolled: 1-line block ×5, first 2 shown]
	s_mov_b32 s57, 0x3fefdd0d
	s_mov_b32 s56, s36
	v_mul_f64 v[171:172], v[82:83], s[20:21]
	v_mul_f64 v[173:174], v[86:87], s[24:25]
	s_mov_b32 s59, 0x3fe58eea
	s_mov_b32 s58, s34
	v_mul_f64 v[181:182], v[106:107], s[6:7]
	v_mul_f64 v[187:188], v[112:113], s[10:11]
	v_fma_f64 v[147:148], v[138:139], s[54:55], v[140:141]
	v_fma_f64 v[140:141], v[138:139], s[30:31], v[140:141]
	v_mul_f64 v[191:192], v[112:113], s[20:21]
	v_fma_f64 v[157:158], v[138:139], s[42:43], v[143:144]
	v_fma_f64 v[143:144], v[138:139], s[46:47], v[143:144]
	;; [unrolled: 1-line block ×14, first 2 shown]
	v_mul_f64 v[159:160], v[86:87], s[12:13]
	v_mul_f64 v[195:196], v[112:113], s[6:7]
	;; [unrolled: 1-line block ×3, first 2 shown]
	v_fma_f64 v[183:184], v[124:125], s[50:51], v[181:182]
	v_mul_f64 v[203:204], v[112:113], s[12:13]
	v_add_f64 v[147:148], v[6:7], v[147:148]
	v_add_f64 v[140:141], v[6:7], v[140:141]
	v_fma_f64 v[189:190], v[132:133], s[34:35], v[187:188]
	v_add_f64 v[157:158], v[6:7], v[157:158]
	v_add_f64 v[143:144], v[6:7], v[143:144]
	v_fma_f64 v[187:188], v[132:133], s[58:59], v[187:188]
	v_add_f64 v[165:166], v[6:7], v[165:166]
	v_fma_f64 v[193:194], v[132:133], s[54:55], v[191:192]
	v_add_f64 v[149:150], v[6:7], v[149:150]
	v_add_f64 v[169:170], v[6:7], v[169:170]
	;; [unrolled: 1-line block ×3, first 2 shown]
	v_fma_f64 v[191:192], v[132:133], s[30:31], v[191:192]
	v_add_f64 v[177:178], v[6:7], v[177:178]
	v_add_f64 v[155:156], v[6:7], v[155:156]
	;; [unrolled: 1-line block ×4, first 2 shown]
	v_fma_f64 v[197:198], v[132:133], s[50:51], v[195:196]
	v_fma_f64 v[195:196], v[132:133], s[26:27], v[195:196]
	;; [unrolled: 1-line block ×4, first 2 shown]
	v_add_f64 v[147:148], v[161:162], v[147:148]
	v_fma_f64 v[161:162], v[136:137], s[40:41], v[163:164]
	v_fma_f64 v[163:164], v[136:137], s[44:45], v[163:164]
	v_add_f64 v[140:141], v[145:146], v[140:141]
	v_fma_f64 v[145:146], v[136:137], s[46:47], v[167:168]
	v_fma_f64 v[167:168], v[136:137], s[42:43], v[167:168]
	v_add_f64 v[157:158], v[175:176], v[157:158]
	v_mul_f64 v[175:176], v[86:87], s[6:7]
	v_add_f64 v[143:144], v[153:154], v[143:144]
	v_fma_f64 v[153:154], v[136:137], s[54:55], v[171:172]
	v_fma_f64 v[171:172], v[136:137], s[30:31], v[171:172]
	;; [unrolled: 1-line block ×3, first 2 shown]
	v_add_f64 v[161:162], v[161:162], v[165:166]
	v_fma_f64 v[165:166], v[134:135], s[42:43], v[173:174]
	v_add_f64 v[149:150], v[163:164], v[149:150]
	v_mul_f64 v[163:164], v[86:87], s[10:11]
	v_fma_f64 v[173:174], v[134:135], s[46:47], v[173:174]
	v_add_f64 v[145:146], v[145:146], v[169:170]
	v_fma_f64 v[169:170], v[134:135], s[56:57], v[159:160]
	v_add_f64 v[151:152], v[167:168], v[151:152]
	v_mul_f64 v[167:168], v[86:87], s[22:23]
	v_fma_f64 v[159:160], v[134:135], s[36:37], v[159:160]
	;; [unrolled: 5-line block ×3, first 2 shown]
	v_add_f64 v[147:148], v[165:166], v[147:148]
	v_fma_f64 v[165:166], v[134:135], s[34:35], v[163:164]
	v_fma_f64 v[163:164], v[134:135], s[58:59], v[163:164]
	v_add_f64 v[140:141], v[173:174], v[140:141]
	v_mul_f64 v[173:174], v[90:91], s[18:19]
	v_add_f64 v[157:158], v[169:170], v[157:158]
	v_fma_f64 v[169:170], v[134:135], s[40:41], v[167:168]
	v_add_f64 v[143:144], v[159:160], v[143:144]
	v_mul_f64 v[159:160], v[90:91], s[24:25]
	v_fma_f64 v[167:168], v[134:135], s[44:45], v[167:168]
	v_add_f64 v[161:162], v[177:178], v[161:162]
	v_fma_f64 v[177:178], v[126:127], s[34:35], v[171:172]
	v_add_f64 v[149:150], v[175:176], v[149:150]
	v_mul_f64 v[175:176], v[90:91], s[16:17]
	v_fma_f64 v[171:172], v[126:127], s[58:59], v[171:172]
	v_add_f64 v[145:146], v[165:166], v[145:146]
	v_mul_f64 v[165:166], v[90:91], s[6:7]
	v_add_f64 v[151:152], v[163:164], v[151:152]
	v_fma_f64 v[163:164], v[126:127], s[28:29], v[173:174]
	v_fma_f64 v[173:174], v[126:127], s[52:53], v[173:174]
	v_add_f64 v[153:154], v[169:170], v[153:154]
	v_fma_f64 v[169:170], v[126:127], s[42:43], v[159:160]
	v_fma_f64 v[159:160], v[126:127], s[46:47], v[159:160]
	v_add_f64 v[155:156], v[167:168], v[155:156]
	v_mul_f64 v[167:168], v[82:83], s[18:19]
	v_add_f64 v[147:148], v[177:178], v[147:148]
	v_fma_f64 v[177:178], v[126:127], s[48:49], v[175:176]
	v_fma_f64 v[175:176], v[126:127], s[38:39], v[175:176]
	v_add_f64 v[140:141], v[171:172], v[140:141]
	v_fma_f64 v[171:172], v[126:127], s[26:27], v[165:166]
	v_fma_f64 v[165:166], v[126:127], s[50:51], v[165:166]
	v_add_f64 v[157:158], v[163:164], v[157:158]
	v_mul_f64 v[163:164], v[100:101], s[18:19]
	v_add_f64 v[143:144], v[173:174], v[143:144]
	v_mul_f64 v[173:174], v[100:101], s[6:7]
	v_add_f64 v[161:162], v[169:170], v[161:162]
	v_add_f64 v[149:150], v[159:160], v[149:150]
	v_mul_f64 v[169:170], v[86:87], s[20:21]
	v_fma_f64 v[159:160], v[136:137], s[52:53], v[167:168]
	v_fma_f64 v[136:137], v[136:137], s[28:29], v[167:168]
	v_mul_f64 v[167:168], v[100:101], s[12:13]
	v_add_f64 v[145:146], v[177:178], v[145:146]
	v_add_f64 v[151:152], v[175:176], v[151:152]
	v_mul_f64 v[175:176], v[100:101], s[20:21]
	v_mul_f64 v[177:178], v[100:101], s[16:17]
	v_add_f64 v[153:154], v[171:172], v[153:154]
	v_add_f64 v[155:156], v[165:166], v[155:156]
	v_fma_f64 v[165:166], v[122:123], s[52:53], v[163:164]
	v_fma_f64 v[163:164], v[122:123], s[28:29], v[163:164]
	;; [unrolled: 1-line block ×4, first 2 shown]
	v_add_f64 v[159:160], v[159:160], v[179:180]
	v_fma_f64 v[179:180], v[134:135], s[30:31], v[169:170]
	v_fma_f64 v[134:135], v[134:135], s[54:55], v[169:170]
	;; [unrolled: 1-line block ×4, first 2 shown]
	v_add_f64 v[136:137], v[136:137], v[138:139]
	v_mul_f64 v[138:139], v[90:91], s[22:23]
	v_add_f64 v[147:148], v[165:166], v[147:148]
	v_add_f64 v[140:141], v[163:164], v[140:141]
	;; [unrolled: 1-line block ×3, first 2 shown]
	v_fma_f64 v[163:164], v[122:123], s[54:55], v[175:176]
	v_fma_f64 v[165:166], v[122:123], s[30:31], v[175:176]
	;; [unrolled: 1-line block ×3, first 2 shown]
	v_mul_f64 v[175:176], v[106:107], s[16:17]
	v_add_f64 v[143:144], v[173:174], v[143:144]
	v_mul_f64 v[173:174], v[106:107], s[20:21]
	v_add_f64 v[161:162], v[169:170], v[161:162]
	;; [unrolled: 2-line block ×3, first 2 shown]
	v_add_f64 v[159:160], v[179:180], v[159:160]
	v_fma_f64 v[167:168], v[126:127], s[40:41], v[138:139]
	v_mul_f64 v[179:180], v[100:101], s[10:11]
	v_fma_f64 v[126:127], v[126:127], s[44:45], v[138:139]
	v_mul_f64 v[138:139], v[106:107], s[12:13]
	v_add_f64 v[134:135], v[134:135], v[136:137]
	v_mul_f64 v[136:137], v[106:107], s[24:25]
	v_fma_f64 v[177:178], v[122:123], s[38:39], v[177:178]
	v_add_f64 v[145:146], v[163:164], v[145:146]
	v_add_f64 v[151:152], v[165:166], v[151:152]
	;; [unrolled: 1-line block ×3, first 2 shown]
	v_fma_f64 v[163:164], v[124:125], s[38:39], v[175:176]
	v_fma_f64 v[165:166], v[124:125], s[48:49], v[175:176]
	;; [unrolled: 1-line block ×6, first 2 shown]
	v_add_f64 v[159:160], v[167:168], v[159:160]
	v_fma_f64 v[167:168], v[122:123], s[34:35], v[179:180]
	v_fma_f64 v[122:123], v[122:123], s[58:59], v[179:180]
	;; [unrolled: 1-line block ×4, first 2 shown]
	v_add_f64 v[126:127], v[126:127], v[134:135]
	v_fma_f64 v[134:135], v[124:125], s[42:43], v[136:137]
	v_fma_f64 v[136:137], v[124:125], s[46:47], v[136:137]
	v_fma_f64 v[124:125], v[124:125], s[26:27], v[181:182]
	v_mul_f64 v[181:182], v[112:113], s[22:23]
	v_add_f64 v[138:139], v[138:139], v[151:152]
	v_add_f64 v[134:135], v[134:135], v[153:154]
	v_fma_f64 v[185:186], v[132:133], s[44:45], v[181:182]
	v_fma_f64 v[181:182], v[132:133], s[40:41], v[181:182]
	;; [unrolled: 1-line block ×3, first 2 shown]
	v_mul_f64 v[203:204], v[86:87], s[18:19]
	v_mul_f64 v[86:87], v[86:87], s[16:17]
	v_add_f64 v[102:103], v[102:103], v[203:204]
	v_mul_f64 v[203:204], v[0:1], s[10:11]
	v_mul_f64 v[0:1], v[0:1], s[6:7]
	v_add_f64 v[86:87], v[92:93], v[86:87]
	v_add_f64 v[92:93], v[167:168], v[159:160]
	;; [unrolled: 1-line block ×4, first 2 shown]
	v_mul_f64 v[203:204], v[82:83], s[12:13]
	v_mul_f64 v[78:79], v[82:83], s[10:11]
	;; [unrolled: 1-line block ×3, first 2 shown]
	v_add_f64 v[92:93], v[183:184], v[92:93]
	v_add_f64 v[88:89], v[6:7], v[88:89]
	;; [unrolled: 1-line block ×7, first 2 shown]
	v_mul_f64 v[84:85], v[112:113], s[24:25]
	v_mul_f64 v[104:105], v[96:97], s[16:17]
	v_add_f64 v[92:93], v[205:206], v[92:93]
	v_add_f64 v[6:7], v[68:69], v[6:7]
	;; [unrolled: 1-line block ×3, first 2 shown]
	v_mul_f64 v[94:95], v[90:91], s[20:21]
	v_add_f64 v[0:1], v[78:79], v[0:1]
	v_mul_f64 v[78:79], v[90:91], s[12:13]
	v_mul_f64 v[90:91], v[96:97], s[12:13]
	v_add_f64 v[84:85], v[116:117], v[84:85]
	v_add_f64 v[116:117], v[171:172], v[157:158]
	;; [unrolled: 1-line block ×5, first 2 shown]
	v_mul_f64 v[102:103], v[100:101], s[24:25]
	v_add_f64 v[78:79], v[98:99], v[78:79]
	v_add_f64 v[0:1], v[86:87], v[0:1]
	v_mul_f64 v[108:109], v[112:113], s[16:17]
	v_add_f64 v[100:101], v[122:123], v[126:127]
	v_add_f64 v[86:87], v[177:178], v[155:156]
	;; [unrolled: 3-line block ×3, first 2 shown]
	v_fma_f64 v[140:141], v[10:11], s[38:39], v[104:105]
	v_fma_f64 v[104:105], v[10:11], s[48:49], v[104:105]
	v_add_f64 v[6:7], v[64:65], v[6:7]
	v_add_f64 v[88:89], v[94:95], v[88:89]
	;; [unrolled: 1-line block ×3, first 2 shown]
	v_mul_f64 v[94:95], v[106:107], s[22:23]
	v_add_f64 v[0:1], v[78:79], v[0:1]
	v_mul_f64 v[78:79], v[106:107], s[18:19]
	v_add_f64 v[108:109], v[120:121], v[108:109]
	;; [unrolled: 2-line block ×3, first 2 shown]
	v_add_f64 v[86:87], v[136:137], v[86:87]
	v_add_f64 v[106:107], v[163:164], v[147:148]
	;; [unrolled: 1-line block ×4, first 2 shown]
	v_fma_f64 v[122:123], v[10:11], s[44:45], v[98:99]
	v_fma_f64 v[98:99], v[10:11], s[40:41], v[98:99]
	v_add_f64 v[6:7], v[60:61], v[6:7]
	v_add_f64 v[88:89], v[102:103], v[88:89]
	;; [unrolled: 1-line block ×5, first 2 shown]
	v_mul_f64 v[102:103], v[96:97], s[18:19]
	v_mul_f64 v[82:83], v[96:97], s[10:11]
	;; [unrolled: 1-line block ×4, first 2 shown]
	v_fma_f64 v[118:119], v[10:11], s[36:37], v[90:91]
	v_fma_f64 v[90:91], v[10:11], s[56:57], v[90:91]
	v_add_f64 v[80:81], v[80:81], v[114:115]
	v_add_f64 v[100:101], v[132:133], v[100:101]
	;; [unrolled: 1-line block ×8, first 2 shown]
	v_fma_f64 v[143:144], v[10:11], s[52:53], v[102:103]
	v_fma_f64 v[78:79], v[10:11], s[28:29], v[102:103]
	v_fma_f64 v[102:103], v[10:11], s[34:35], v[82:83]
	v_fma_f64 v[82:83], v[10:11], s[58:59], v[82:83]
	v_fma_f64 v[136:137], v[10:11], s[42:43], v[110:111]
	v_fma_f64 v[10:11], v[10:11], s[46:47], v[110:111]
	v_add_f64 v[110:111], v[189:190], v[116:117]
	v_add_f64 v[116:117], v[195:196], v[138:139]
	;; [unrolled: 1-line block ×27, first 2 shown]
	v_mad_u32_u24 v76, 0x88, v142, 0
	v_add_f64 v[6:7], v[40:41], v[6:7]
	v_add_f64 v[6:7], v[36:37], v[6:7]
	;; [unrolled: 1-line block ×8, first 2 shown]
	ds_write2_b64 v76, v[80:81], v[10:11] offset0:2 offset1:3
	ds_write2_b64 v76, v[82:83], v[78:79] offset0:4 offset1:5
	;; [unrolled: 1-line block ×7, first 2 shown]
	ds_write2_b64 v76, v[6:7], v[0:1] offset1:1
	ds_write_b64 v76, v[4:5] offset:128
.LBB0_13:
	s_or_b32 exec_lo, exec_lo, s1
	v_add_f64 v[140:141], v[72:73], -v[12:13]
	v_add_f64 v[114:115], v[68:69], -v[16:17]
	v_add_f64 v[104:105], v[14:15], v[74:75]
	v_add_f64 v[120:121], v[52:53], -v[20:21]
	v_add_f64 v[72:73], v[18:19], v[70:71]
	v_add_f64 v[68:69], v[22:23], v[54:55]
	v_add_f64 v[122:123], v[64:65], -v[24:25]
	v_add_f64 v[64:65], v[26:27], v[66:67]
	v_add_f64 v[126:127], v[60:61], -v[28:29]
	;; [unrolled: 2-line block ×5, first 2 shown]
	v_lshl_add_u32 v143, v142, 3, 0
	s_waitcnt lgkmcnt(0)
	s_barrier
	buffer_gl0_inv
	v_add_nc_u32_e32 v145, 0xc00, v143
	v_add_nc_u32_e32 v144, 0x2400, v143
	v_mul_f64 v[106:107], v[140:141], s[26:27]
	v_mul_f64 v[108:109], v[140:141], s[34:35]
	;; [unrolled: 1-line block ×14, first 2 shown]
	v_add_nc_u32_e32 v147, 0x2c00, v143
	v_add_nc_u32_e32 v146, 0x1400, v143
	;; [unrolled: 1-line block ×4, first 2 shown]
	v_fma_f64 v[0:1], v[104:105], s[6:7], v[106:107]
	v_fma_f64 v[6:7], v[104:105], s[10:11], v[108:109]
	;; [unrolled: 1-line block ×8, first 2 shown]
	v_add_f64 v[0:1], v[8:9], v[0:1]
	v_add_f64 v[6:7], v[8:9], v[6:7]
	;; [unrolled: 1-line block ×4, first 2 shown]
	v_fma_f64 v[10:11], v[64:65], s[12:13], v[60:61]
	v_fma_f64 v[12:13], v[64:65], s[20:21], v[124:125]
	v_add_f64 v[0:1], v[16:17], v[0:1]
	v_add_f64 v[6:7], v[20:21], v[6:7]
	v_fma_f64 v[16:17], v[52:53], s[22:23], v[56:57]
	v_fma_f64 v[20:21], v[52:53], s[24:25], v[132:133]
	v_add_f64 v[0:1], v[10:11], v[0:1]
	v_add_f64 v[6:7], v[12:13], v[6:7]
	;; [unrolled: 4-line block ×3, first 2 shown]
	v_add_f64 v[6:7], v[42:43], v[46:47]
	v_mul_f64 v[16:17], v[24:25], s[30:31]
	v_mul_f64 v[20:21], v[24:25], s[50:51]
	v_add_f64 v[0:1], v[10:11], v[0:1]
	v_add_f64 v[10:11], v[12:13], v[36:37]
	v_fma_f64 v[12:13], v[6:7], s[20:21], v[16:17]
	v_fma_f64 v[36:37], v[6:7], s[6:7], v[20:21]
	v_add_f64 v[0:1], v[76:77], v[0:1]
	v_add_f64 v[10:11], v[78:79], v[10:11]
	ds_read2_b64 v[76:79], v143 offset1:119
	ds_read2_b64 v[80:83], v145 offset0:92 offset1:211
	ds_read2_b64 v[88:91], v144 offset0:38 offset1:157
	;; [unrolled: 1-line block ×4, first 2 shown]
	v_add_f64 v[12:13], v[12:13], v[0:1]
	v_add_f64 v[10:11], v[36:37], v[10:11]
	ds_read2_b64 v[96:99], v147 offset0:20 offset1:139
	ds_read2_b64 v[92:95], v149 offset0:56 offset1:175
	ds_read_b64 v[0:1], v143 offset:13328
	s_waitcnt lgkmcnt(0)
	s_barrier
	buffer_gl0_inv
	s_and_saveexec_b32 s33, s0
	s_cbranch_execz .LBB0_15
; %bb.14:
	v_add_f64 v[74:75], v[74:75], v[8:9]
	v_mul_f64 v[164:165], v[64:65], s[20:21]
	v_mul_f64 v[166:167], v[52:53], s[22:23]
	;; [unrolled: 1-line block ×6, first 2 shown]
	s_mov_b32 s42, 0x7c9e640b
	s_mov_b32 s40, 0xeb564b22
	s_mov_b32 s20, 0x923c349f
	s_mov_b32 s22, 0x6c9a05f6
	s_mov_b32 s24, 0x4363dd80
	s_mov_b32 s44, 0xacd6c6b4
	s_mov_b32 s43, 0xbfeca52d
	s_mov_b32 s41, 0xbfefdd0d
	s_mov_b32 s21, 0xbfeec746
	s_mov_b32 s23, 0xbfe9895b
	s_mov_b32 s25, 0xbfe0d888
	s_mov_b32 s45, 0xbfc7851a
	v_mul_f64 v[150:151], v[104:105], s[6:7]
	v_mul_f64 v[152:153], v[104:105], s[10:11]
	;; [unrolled: 1-line block ×3, first 2 shown]
	v_add_f64 v[70:71], v[70:71], v[74:75]
	v_mul_f64 v[156:157], v[72:73], s[12:13]
	v_mul_f64 v[158:159], v[68:69], s[16:17]
	;; [unrolled: 1-line block ×10, first 2 shown]
	s_mov_b32 s0, 0x2b2883cd
	s_mov_b32 s10, 0x3259b75e
	;; [unrolled: 1-line block ×11, first 2 shown]
	v_add_f64 v[54:55], v[54:55], v[70:71]
	v_mul_f64 v[70:71], v[140:141], s[42:43]
	v_mul_f64 v[140:141], v[140:141], s[44:45]
	s_mov_b32 s19, 0xbfeb34fa
	s_mov_b32 s35, 0xbfef7484
	;; [unrolled: 1-line block ×9, first 2 shown]
	v_mul_f64 v[184:185], v[114:115], s[22:23]
	v_mul_f64 v[186:187], v[114:115], s[44:45]
	;; [unrolled: 1-line block ×4, first 2 shown]
	v_add_f64 v[60:61], v[162:163], -v[60:61]
	s_mov_b32 s36, 0x370991
	s_mov_b32 s30, 0x2a9d6da3
	s_mov_b32 s37, 0x3fedd6d0
	s_mov_b32 s51, 0x3fc7851a
	s_mov_b32 s31, 0x3fe58eea
	v_add_f64 v[54:55], v[66:67], v[54:55]
	v_mul_f64 v[66:67], v[114:115], s[54:55]
	v_mul_f64 v[114:115], v[114:115], s[26:27]
	v_fma_f64 v[162:163], v[104:105], s[34:35], -v[140:141]
	s_mov_b32 s53, 0xbfd71e95
	s_mov_b32 s50, s44
	;; [unrolled: 1-line block ×3, first 2 shown]
	v_mul_f64 v[188:189], v[120:121], s[30:31]
	v_mul_f64 v[190:191], v[120:121], s[40:41]
	;; [unrolled: 1-line block ×6, first 2 shown]
	v_add_f64 v[56:57], v[166:167], -v[56:57]
	v_add_f64 v[48:49], v[170:171], -v[48:49]
	v_fma_f64 v[166:167], v[72:73], s[34:35], -v[186:187]
	v_fma_f64 v[248:249], v[72:73], s[18:19], -v[220:221]
	v_fma_f64 v[220:221], v[72:73], s[18:19], v[220:221]
	v_fma_f64 v[250:251], v[72:73], s[12:13], -v[222:223]
	v_fma_f64 v[222:223], v[72:73], s[12:13], v[222:223]
	s_mov_b32 s28, 0x75d4884
	s_mov_b32 s29, 0x3fe7a5f6
	v_add_f64 v[54:55], v[62:63], v[54:55]
	v_fma_f64 v[170:171], v[72:73], s[36:37], -v[66:67]
	v_fma_f64 v[66:67], v[72:73], s[36:37], v[66:67]
	s_mov_b32 s57, 0x3fe9895b
	s_mov_b32 s56, s22
	v_mul_f64 v[194:195], v[122:123], s[54:55]
	v_mul_f64 v[196:197], v[122:123], s[42:43]
	;; [unrolled: 1-line block ×6, first 2 shown]
	v_add_f64 v[40:41], v[174:175], -v[40:41]
	v_add_f64 v[44:45], v[176:177], -v[44:45]
	v_fma_f64 v[174:175], v[68:69], s[28:29], v[188:189]
	v_fma_f64 v[176:177], v[68:69], s[10:11], -v[190:191]
	s_mov_b32 s39, 0x3fefdd0d
	s_mov_b32 s38, s40
	v_mul_f64 v[202:203], v[126:127], s[30:31]
	v_mul_f64 v[204:205], v[126:127], s[42:43]
	v_mul_f64 v[206:207], v[126:127], s[44:45]
	v_mul_f64 v[208:209], v[126:127], s[22:23]
	v_mul_f64 v[230:231], v[126:127], s[38:39]
	v_add_f64 v[54:55], v[58:59], v[54:55]
	v_add_f64 v[58:59], v[150:151], -v[106:107]
	v_add_f64 v[106:107], v[152:153], -v[108:109]
	;; [unrolled: 1-line block ×9, first 2 shown]
	v_fma_f64 v[136:137], v[104:105], s[0:1], -v[70:71]
	v_fma_f64 v[70:71], v[104:105], s[0:1], v[70:71]
	v_fma_f64 v[150:151], v[104:105], s[10:11], -v[74:75]
	v_fma_f64 v[74:75], v[104:105], s[10:11], v[74:75]
	;; [unrolled: 2-line block ×3, first 2 shown]
	v_fma_f64 v[156:157], v[104:105], s[16:17], -v[180:181]
	v_fma_f64 v[158:159], v[104:105], s[18:19], -v[182:183]
	v_fma_f64 v[160:161], v[104:105], s[18:19], v[182:183]
	v_fma_f64 v[164:165], v[72:73], s[16:17], v[184:185]
	;; [unrolled: 1-line block ×3, first 2 shown]
	v_fma_f64 v[172:173], v[68:69], s[28:29], -v[188:189]
	v_add_f64 v[50:51], v[50:51], v[54:55]
	v_fma_f64 v[54:55], v[104:105], s[16:17], v[180:181]
	v_fma_f64 v[104:105], v[104:105], s[34:35], v[140:141]
	v_add_f64 v[58:59], v[8:9], v[58:59]
	v_fma_f64 v[140:141], v[72:73], s[16:17], -v[184:185]
	v_add_f64 v[106:107], v[8:9], v[106:107]
	v_fma_f64 v[178:179], v[68:69], s[10:11], v[190:191]
	v_fma_f64 v[180:181], v[68:69], s[18:19], -v[192:193]
	v_fma_f64 v[182:183], v[68:69], s[18:19], v[192:193]
	v_mul_f64 v[126:127], v[126:127], s[52:53]
	v_fma_f64 v[184:185], v[64:65], s[36:37], -v[194:195]
	v_add_f64 v[70:71], v[8:9], v[70:71]
	v_fma_f64 v[186:187], v[64:65], s[36:37], v[194:195]
	v_add_f64 v[74:75], v[8:9], v[74:75]
	v_fma_f64 v[188:189], v[64:65], s[0:1], -v[196:197]
	v_fma_f64 v[190:191], v[64:65], s[0:1], v[196:197]
	v_fma_f64 v[192:193], v[64:65], s[18:19], v[198:199]
	v_fma_f64 v[194:195], v[64:65], s[28:29], -v[200:201]
	v_fma_f64 v[196:197], v[64:65], s[28:29], v[200:201]
	s_mov_b32 s59, 0xbfe58eea
	s_mov_b32 s58, s30
	v_mul_f64 v[210:211], v[134:135], s[24:25]
	v_add_f64 v[46:47], v[46:47], v[50:51]
	v_add_f64 v[54:55], v[8:9], v[54:55]
	v_fma_f64 v[50:51], v[64:65], s[18:19], -v[198:199]
	v_add_f64 v[58:59], v[108:109], v[58:59]
	v_mul_f64 v[62:63], v[134:135], s[44:45]
	v_add_f64 v[106:107], v[110:111], v[106:107]
	v_mul_f64 v[232:233], v[134:135], s[52:53]
	v_mul_f64 v[234:235], v[134:135], s[38:39]
	;; [unrolled: 1-line block ×4, first 2 shown]
	v_fma_f64 v[198:199], v[52:53], s[28:29], -v[202:203]
	v_add_f64 v[70:71], v[164:165], v[70:71]
	v_fma_f64 v[242:243], v[52:53], s[16:17], -v[208:209]
	v_add_f64 v[74:75], v[168:169], v[74:75]
	v_fma_f64 v[208:209], v[52:53], s[16:17], v[208:209]
	v_fma_f64 v[200:201], v[52:53], s[28:29], v[202:203]
	v_fma_f64 v[202:203], v[52:53], s[0:1], -v[204:205]
	v_fma_f64 v[240:241], v[52:53], s[34:35], -v[206:207]
	v_fma_f64 v[206:207], v[52:53], s[34:35], v[206:207]
	v_fma_f64 v[204:205], v[52:53], s[0:1], v[204:205]
	v_mul_f64 v[212:213], v[138:139], s[40:41]
	v_fma_f64 v[244:245], v[32:33], s[18:19], -v[210:211]
	v_add_f64 v[42:43], v[42:43], v[46:47]
	v_fma_f64 v[46:47], v[72:73], s[0:1], -v[114:115]
	v_fma_f64 v[72:73], v[72:73], s[0:1], v[114:115]
	v_add_f64 v[114:115], v[8:9], v[136:137]
	v_add_f64 v[136:137], v[8:9], v[150:151]
	;; [unrolled: 1-line block ×9, first 2 shown]
	v_fma_f64 v[104:105], v[68:69], s[34:35], -v[224:225]
	v_fma_f64 v[162:163], v[68:69], s[34:35], v[224:225]
	v_fma_f64 v[224:225], v[68:69], s[12:13], -v[226:227]
	v_fma_f64 v[226:227], v[68:69], s[12:13], v[226:227]
	v_add_f64 v[54:55], v[222:223], v[54:55]
	v_add_f64 v[58:59], v[112:113], v[58:59]
	;; [unrolled: 1-line block ×3, first 2 shown]
	v_fma_f64 v[210:211], v[32:33], s[18:19], v[210:211]
	v_fma_f64 v[246:247], v[32:33], s[34:35], -v[62:63]
	v_fma_f64 v[62:63], v[32:33], s[34:35], v[62:63]
	v_add_f64 v[38:39], v[38:39], v[42:43]
	v_fma_f64 v[42:43], v[68:69], s[36:37], -v[120:121]
	v_fma_f64 v[68:69], v[68:69], s[36:37], v[120:121]
	v_add_f64 v[108:109], v[140:141], v[114:115]
	v_add_f64 v[110:111], v[166:167], v[136:137]
	;; [unrolled: 1-line block ×9, first 2 shown]
	v_fma_f64 v[154:155], v[64:65], s[12:13], -v[228:229]
	v_fma_f64 v[156:157], v[64:65], s[12:13], v[228:229]
	v_add_f64 v[70:71], v[162:163], v[70:71]
	v_add_f64 v[74:75], v[226:227], v[74:75]
	v_mul_f64 v[214:215], v[138:139], s[44:45]
	v_add_f64 v[58:59], v[60:61], v[58:59]
	v_add_f64 v[60:61], v[118:119], v[106:107]
	v_fma_f64 v[118:119], v[32:33], s[28:29], v[236:237]
	v_mul_f64 v[216:217], v[138:139], s[30:31]
	v_mul_f64 v[218:219], v[138:139], s[20:21]
	v_add_f64 v[34:35], v[34:35], v[38:39]
	v_fma_f64 v[38:39], v[64:65], s[16:17], -v[122:123]
	v_fma_f64 v[64:65], v[64:65], s[16:17], v[122:123]
	v_add_f64 v[104:105], v[104:105], v[108:109]
	v_add_f64 v[54:55], v[68:69], v[54:55]
	;; [unrolled: 1-line block ×10, first 2 shown]
	v_fma_f64 v[120:121], v[52:53], s[10:11], -v[230:231]
	v_add_f64 v[70:71], v[156:157], v[70:71]
	v_fma_f64 v[136:137], v[52:53], s[36:37], -v[126:127]
	v_add_f64 v[74:75], v[186:187], v[74:75]
	v_fma_f64 v[122:123], v[52:53], s[10:11], v[230:231]
	v_add_f64 v[56:57], v[56:57], v[58:59]
	v_add_f64 v[58:59], v[124:125], v[60:61]
	v_mul_f64 v[238:239], v[138:139], s[56:57]
	v_mul_f64 v[138:139], v[138:139], s[52:53]
	v_add_f64 v[30:31], v[30:31], v[34:35]
	v_fma_f64 v[34:35], v[52:53], s[36:37], v[126:127]
	v_fma_f64 v[52:53], v[32:33], s[36:37], -v[232:233]
	v_add_f64 v[104:105], v[154:155], v[104:105]
	v_fma_f64 v[66:67], v[28:29], s[10:11], -v[212:213]
	v_add_f64 v[106:107], v[184:185], v[108:109]
	v_add_f64 v[108:109], v[188:189], v[110:111]
	;; [unrolled: 1-line block ×9, first 2 shown]
	v_fma_f64 v[64:65], v[32:33], s[36:37], v[232:233]
	v_fma_f64 v[68:69], v[32:33], s[10:11], -v[234:235]
	v_fma_f64 v[72:73], v[32:33], s[10:11], v[234:235]
	v_fma_f64 v[112:113], v[32:33], s[28:29], -v[236:237]
	v_add_f64 v[70:71], v[200:201], v[70:71]
	v_add_f64 v[74:75], v[204:205], v[74:75]
	;; [unrolled: 1-line block ×5, first 2 shown]
	v_fma_f64 v[30:31], v[32:33], s[0:1], -v[134:135]
	v_fma_f64 v[32:33], v[32:33], s[0:1], v[134:135]
	v_add_f64 v[60:61], v[198:199], v[104:105]
	v_fma_f64 v[152:153], v[28:29], s[34:35], -v[214:215]
	v_add_f64 v[104:105], v[202:203], v[106:107]
	v_add_f64 v[106:107], v[240:241], v[108:109]
	v_add_f64 v[42:43], v[120:121], v[42:43]
	v_add_f64 v[50:51], v[122:123], v[50:51]
	v_add_f64 v[38:39], v[136:137], v[38:39]
	v_add_f64 v[34:35], v[34:35], v[46:47]
	v_add_f64 v[46:47], v[242:243], v[54:55]
	v_add_f64 v[8:9], v[208:209], v[8:9]
	v_add_f64 v[108:109], v[206:207], v[110:111]
	v_fma_f64 v[122:123], v[28:29], s[16:17], -v[238:239]
	v_fma_f64 v[116:117], v[28:29], s[28:29], -v[216:217]
	v_fma_f64 v[54:55], v[28:29], s[28:29], v[216:217]
	v_fma_f64 v[110:111], v[28:29], s[12:13], -v[218:219]
	v_add_f64 v[58:59], v[64:65], v[70:71]
	v_add_f64 v[64:65], v[210:211], v[74:75]
	v_mul_f64 v[74:75], v[24:25], s[26:27]
	v_fma_f64 v[120:121], v[28:29], s[12:13], v[218:219]
	v_add_f64 v[22:23], v[22:23], v[26:27]
	v_fma_f64 v[26:27], v[28:29], s[36:37], -v[138:139]
	v_fma_f64 v[150:151], v[28:29], s[10:11], v[212:213]
	v_add_f64 v[52:53], v[52:53], v[60:61]
	v_fma_f64 v[114:115], v[28:29], s[34:35], v[214:215]
	v_add_f64 v[60:61], v[244:245], v[104:105]
	v_add_f64 v[68:69], v[68:69], v[106:107]
	;; [unrolled: 1-line block ×3, first 2 shown]
	v_fma_f64 v[124:125], v[28:29], s[16:17], v[238:239]
	v_add_f64 v[38:39], v[246:247], v[38:39]
	v_add_f64 v[34:35], v[62:63], v[34:35]
	v_add_f64 v[30:31], v[30:31], v[46:47]
	v_add_f64 v[8:9], v[32:33], v[8:9]
	v_mul_f64 v[32:33], v[6:7], s[6:7]
	v_mul_f64 v[46:47], v[24:25], s[24:25]
	v_add_f64 v[70:71], v[72:73], v[108:109]
	v_mul_f64 v[62:63], v[24:25], s[30:31]
	v_mul_f64 v[72:73], v[24:25], s[22:23]
	v_add_f64 v[50:51], v[118:119], v[50:51]
	v_fma_f64 v[28:29], v[28:29], s[36:37], v[138:139]
	v_add_f64 v[40:41], v[40:41], v[48:49]
	v_add_f64 v[16:17], v[36:37], -v[16:17]
	v_add_f64 v[18:19], v[18:19], v[22:23]
	v_mul_f64 v[22:23], v[24:25], s[20:21]
	v_mul_f64 v[24:25], v[24:25], s[38:39]
	v_add_f64 v[44:45], v[44:45], v[56:57]
	v_add_f64 v[48:49], v[66:67], v[52:53]
	;; [unrolled: 1-line block ×10, first 2 shown]
	v_add_f64 v[20:21], v[32:33], -v[20:21]
	v_fma_f64 v[32:33], v[6:7], s[18:19], -v[46:47]
	v_add_f64 v[58:59], v[124:125], v[64:65]
	v_fma_f64 v[36:37], v[6:7], s[28:29], -v[62:63]
	v_fma_f64 v[60:61], v[6:7], s[16:17], -v[72:73]
	v_fma_f64 v[54:55], v[6:7], s[28:29], v[62:63]
	v_fma_f64 v[62:63], v[6:7], s[0:1], -v[74:75]
	v_add_f64 v[50:51], v[114:115], v[50:51]
	v_fma_f64 v[64:65], v[6:7], s[0:1], v[74:75]
	v_add_f64 v[28:29], v[28:29], v[70:71]
	v_fma_f64 v[66:67], v[6:7], s[12:13], -v[22:23]
	v_fma_f64 v[68:69], v[6:7], s[10:11], -v[24:25]
	v_fma_f64 v[24:25], v[6:7], s[10:11], v[24:25]
	v_fma_f64 v[22:23], v[6:7], s[12:13], v[22:23]
	v_fma_f64 v[70:71], v[6:7], s[16:17], v[72:73]
	v_fma_f64 v[6:7], v[6:7], s[18:19], v[46:47]
	v_add_f64 v[14:15], v[14:15], v[18:19]
	v_add_f64 v[16:17], v[16:17], v[40:41]
	v_add_f64 v[18:19], v[20:21], v[44:45]
	v_add_f64 v[20:21], v[32:33], v[48:49]
	v_add_f64 v[32:33], v[36:37], v[56:57]
	v_add_f64 v[26:27], v[60:61], v[26:27]
	v_add_f64 v[36:37], v[54:55], v[58:59]
	v_add_f64 v[40:41], v[62:63], v[42:43]
	v_add_f64 v[42:43], v[64:65], v[50:51]
	v_add_f64 v[38:39], v[66:67], v[38:39]
	v_add_f64 v[30:31], v[68:69], v[30:31]
	v_add_f64 v[8:9], v[24:25], v[8:9]
	v_add_f64 v[22:23], v[22:23], v[34:35]
	v_add_f64 v[24:25], v[70:71], v[28:29]
	v_add_f64 v[6:7], v[6:7], v[52:53]
	v_lshl_add_u32 v28, v142, 7, v143
	ds_write2_b64 v28, v[14:15], v[16:17] offset1:1
	ds_write2_b64 v28, v[18:19], v[20:21] offset0:2 offset1:3
	ds_write2_b64 v28, v[32:33], v[26:27] offset0:4 offset1:5
	;; [unrolled: 1-line block ×7, first 2 shown]
	ds_write_b64 v28, v[12:13] offset:128
.LBB0_15:
	s_or_b32 exec_lo, exec_lo, s33
	v_and_b32_e32 v108, 0xff, v142
	v_add_nc_u32_e32 v137, 0x77, v142
	v_add_nc_u32_e32 v136, 0xee, v142
	v_mov_b32_e32 v7, 0xf0f1
	v_add_nc_u32_e32 v14, 0x165, v142
	v_mul_lo_u16 v6, 0xf1, v108
	v_and_b32_e32 v109, 0xff, v137
	v_add_nc_u32_e32 v18, 0x1dc, v142
	v_mov_b32_e32 v30, 5
	s_load_dwordx2 s[4:5], s[4:5], 0x0
	v_lshrrev_b16 v110, 12, v6
	v_mul_u32_u24_sdwa v6, v136, v7 dst_sel:DWORD dst_unused:UNUSED_PAD src0_sel:WORD_0 src1_sel:DWORD
	v_mul_lo_u16 v8, 0xf1, v109
	s_waitcnt lgkmcnt(0)
	s_barrier
	v_mul_lo_u16 v9, v110, 17
	v_lshrrev_b32_e32 v111, 20, v6
	v_mul_u32_u24_sdwa v6, v14, v7 dst_sel:DWORD dst_unused:UNUSED_PAD src0_sel:WORD_0 src1_sel:DWORD
	v_lshrrev_b16 v112, 12, v8
	v_mul_u32_u24_sdwa v7, v18, v7 dst_sel:DWORD dst_unused:UNUSED_PAD src0_sel:WORD_0 src1_sel:DWORD
	v_sub_nc_u16 v113, v142, v9
	v_mul_lo_u16 v8, v111, 17
	v_lshrrev_b32_e32 v114, 20, v6
	v_mul_lo_u16 v6, v112, 17
	v_lshrrev_b32_e32 v115, 20, v7
	v_lshlrev_b32_sdwa v15, v30, v113 dst_sel:DWORD dst_unused:UNUSED_PAD src0_sel:DWORD src1_sel:BYTE_0
	v_sub_nc_u16 v116, v136, v8
	v_mul_lo_u16 v16, v114, 17
	v_sub_nc_u16 v117, v137, v6
	v_mul_lo_u16 v19, v115, 17
	buffer_gl0_inv
	v_lshlrev_b32_sdwa v31, v30, v116 dst_sel:DWORD dst_unused:UNUSED_PAD src0_sel:DWORD src1_sel:WORD_0
	v_sub_nc_u16 v118, v14, v16
	v_lshlrev_b32_sdwa v26, v30, v117 dst_sel:DWORD dst_unused:UNUSED_PAD src0_sel:DWORD src1_sel:BYTE_0
	v_sub_nc_u16 v119, v18, v19
	s_clause 0x2
	global_load_dwordx4 v[6:9], v15, s[8:9]
	global_load_dwordx4 v[18:21], v31, s[8:9]
	global_load_dwordx4 v[14:17], v15, s[8:9] offset:16
	v_lshlrev_b32_sdwa v38, v30, v118 dst_sel:DWORD dst_unused:UNUSED_PAD src0_sel:DWORD src1_sel:WORD_0
	s_clause 0x1
	global_load_dwordx4 v[22:25], v26, s[8:9] offset:16
	global_load_dwordx4 v[26:29], v26, s[8:9]
	v_lshlrev_b32_sdwa v46, v30, v119 dst_sel:DWORD dst_unused:UNUSED_PAD src0_sel:DWORD src1_sel:WORD_0
	s_clause 0x4
	global_load_dwordx4 v[30:33], v31, s[8:9] offset:16
	global_load_dwordx4 v[34:37], v38, s[8:9]
	global_load_dwordx4 v[38:41], v38, s[8:9] offset:16
	global_load_dwordx4 v[42:45], v46, s[8:9]
	global_load_dwordx4 v[46:49], v46, s[8:9] offset:16
	v_mov_b32_e32 v120, 0xa0a1
	v_mul_lo_u16 v108, 0xa1, v108
	ds_read2_b64 v[50:53], v143 offset1:119
	ds_read2_b64 v[54:57], v145 offset0:92 offset1:211
	ds_read2_b64 v[58:61], v144 offset0:38 offset1:157
	;; [unrolled: 1-line block ×6, first 2 shown]
	ds_read_b64 v[74:75], v143 offset:13328
	v_mov_b32_e32 v121, 0x198
	v_mov_b32_e32 v162, 3
	v_mul_u32_u24_sdwa v120, v136, v120 dst_sel:DWORD dst_unused:UNUSED_PAD src0_sel:WORD_0 src1_sel:DWORD
	v_lshrrev_b16 v163, 13, v108
	v_mul_lo_u16 v108, 0xa1, v109
	v_mul_u32_u24_sdwa v109, v110, v121 dst_sel:DWORD dst_unused:UNUSED_PAD src0_sel:WORD_0 src1_sel:DWORD
	v_mul_u32_u24_e32 v110, 0x198, v111
	v_lshrrev_b32_e32 v164, 21, v120
	v_mul_u32_u24_e32 v111, 0x198, v114
	v_mul_lo_u16 v114, v163, 51
	v_lshrrev_b16 v165, 13, v108
	v_mul_u32_u24_sdwa v134, v112, v121 dst_sel:DWORD dst_unused:UNUSED_PAD src0_sel:WORD_0 src1_sel:DWORD
	v_mul_lo_u16 v108, v164, 51
	v_mul_u32_u24_e32 v133, 0x198, v115
	v_sub_nc_u16 v166, v142, v114
	v_mul_lo_u16 v112, v165, 51
	v_lshlrev_b32_sdwa v114, v162, v118 dst_sel:DWORD dst_unused:UNUSED_PAD src0_sel:DWORD src1_sel:WORD_0
	v_sub_nc_u16 v167, v136, v108
	v_lshlrev_b32_sdwa v108, v162, v113 dst_sel:DWORD dst_unused:UNUSED_PAD src0_sel:DWORD src1_sel:BYTE_0
	v_lshlrev_b32_sdwa v113, v162, v116 dst_sel:DWORD dst_unused:UNUSED_PAD src0_sel:DWORD src1_sel:WORD_0
	v_sub_nc_u16 v168, v137, v112
	v_lshlrev_b32_sdwa v140, v162, v117 dst_sel:DWORD dst_unused:UNUSED_PAD src0_sel:DWORD src1_sel:BYTE_0
	v_add3_u32 v150, 0, v111, v114
	v_add3_u32 v139, 0, v109, v108
	;; [unrolled: 1-line block ×3, first 2 shown]
	v_lshlrev_b32_sdwa v135, v162, v119 dst_sel:DWORD dst_unused:UNUSED_PAD src0_sel:DWORD src1_sel:WORD_0
	s_mov_b32 s0, 0xe8584caa
	s_mov_b32 s1, 0xbfebb67a
	;; [unrolled: 1-line block ×4, first 2 shown]
	v_mov_b32_e32 v132, 6
	v_add3_u32 v133, 0, v133, v135
	s_waitcnt vmcnt(0) lgkmcnt(0)
	s_barrier
	buffer_gl0_inv
	v_lshlrev_b32_sdwa v138, v132, v166 dst_sel:DWORD dst_unused:UNUSED_PAD src0_sel:DWORD src1_sel:BYTE_0
	s_mov_b32 s17, 0x3fee6f0e
	s_mov_b32 s10, 0x4755a5e
	;; [unrolled: 1-line block ×7, first 2 shown]
	v_mul_f64 v[108:109], v[56:57], v[8:9]
	v_mul_f64 v[8:9], v[82:83], v[8:9]
	;; [unrolled: 1-line block ×20, first 2 shown]
	v_fma_f64 v[82:83], v[82:83], v[6:7], v[108:109]
	v_fma_f64 v[6:7], v[56:57], v[6:7], -v[8:9]
	v_fma_f64 v[8:9], v[88:89], v[14:15], v[110:111]
	v_fma_f64 v[14:15], v[58:59], v[14:15], -v[16:17]
	;; [unrolled: 2-line block ×3, first 2 shown]
	v_fma_f64 v[20:21], v[100:101], v[26:27], v[114:115]
	v_fma_f64 v[56:57], v[90:91], v[22:23], v[116:117]
	;; [unrolled: 1-line block ×3, first 2 shown]
	v_fma_f64 v[30:31], v[70:71], v[30:31], -v[32:33]
	v_fma_f64 v[32:33], v[92:93], v[34:35], v[120:121]
	v_fma_f64 v[64:65], v[98:99], v[38:39], v[122:123]
	v_fma_f64 v[26:27], v[62:63], v[26:27], -v[28:29]
	v_fma_f64 v[22:23], v[60:61], v[22:23], -v[24:25]
	v_fma_f64 v[70:71], v[94:95], v[42:43], v[124:125]
	v_fma_f64 v[0:1], v[0:1], v[46:47], v[126:127]
	v_fma_f64 v[34:35], v[104:105], v[34:35], -v[36:37]
	v_fma_f64 v[36:37], v[72:73], v[38:39], -v[40:41]
	;; [unrolled: 1-line block ×4, first 2 shown]
	v_add3_u32 v108, 0, v134, v140
	v_add_f64 v[24:25], v[76:77], v[82:83]
	v_add_f64 v[44:45], v[50:51], v[6:7]
	;; [unrolled: 1-line block ×3, first 2 shown]
	v_add_f64 v[42:43], v[6:7], -v[14:15]
	v_add_f64 v[6:7], v[6:7], v[14:15]
	v_add_f64 v[46:47], v[82:83], -v[8:9]
	v_add_f64 v[82:83], v[66:67], v[18:19]
	v_add_f64 v[48:49], v[20:21], v[56:57]
	;; [unrolled: 1-line block ×3, first 2 shown]
	v_add_f64 v[72:73], v[18:19], -v[30:31]
	v_add_f64 v[18:19], v[18:19], v[30:31]
	v_add_f64 v[74:75], v[32:33], v[64:65]
	;; [unrolled: 1-line block ×7, first 2 shown]
	v_add_f64 v[92:93], v[34:35], -v[36:37]
	v_add_f64 v[34:35], v[34:35], v[36:37]
	v_add_f64 v[100:101], v[38:39], v[40:41]
	;; [unrolled: 1-line block ×3, first 2 shown]
	v_add_f64 v[20:21], v[20:21], -v[56:57]
	v_add_f64 v[16:17], v[16:17], -v[58:59]
	;; [unrolled: 1-line block ×3, first 2 shown]
	v_fma_f64 v[28:29], v[28:29], -0.5, v[76:77]
	v_add_f64 v[76:77], v[26:27], -v[22:23]
	v_fma_f64 v[6:7], v[6:7], -0.5, v[50:51]
	v_add_f64 v[26:27], v[52:53], v[26:27]
	v_add_f64 v[32:33], v[32:33], -v[64:65]
	v_fma_f64 v[48:49], v[48:49], -0.5, v[78:79]
	v_fma_f64 v[62:63], v[62:63], -0.5, v[84:85]
	v_add_f64 v[96:97], v[80:81], v[70:71]
	v_fma_f64 v[18:19], v[18:19], -0.5, v[66:67]
	v_fma_f64 v[74:75], v[74:75], -0.5, v[86:87]
	v_add_f64 v[38:39], v[54:55], v[38:39]
	v_fma_f64 v[52:53], v[102:103], -0.5, v[52:53]
	v_add_f64 v[70:71], v[70:71], -v[0:1]
	v_fma_f64 v[78:79], v[88:89], -0.5, v[80:81]
	v_add_f64 v[50:51], v[94:95], v[36:37]
	v_add_f64 v[8:9], v[24:25], v[8:9]
	v_fma_f64 v[34:35], v[34:35], -0.5, v[68:69]
	v_fma_f64 v[36:37], v[100:101], -0.5, v[54:55]
	v_add_f64 v[14:15], v[44:45], v[14:15]
	v_add_f64 v[54:55], v[104:105], v[56:57]
	;; [unrolled: 1-line block ×4, first 2 shown]
	v_fma_f64 v[56:57], v[42:43], s[0:1], v[28:29]
	v_fma_f64 v[28:29], v[42:43], s[6:7], v[28:29]
	v_add_f64 v[30:31], v[90:91], v[64:65]
	v_fma_f64 v[42:43], v[76:77], s[0:1], v[48:49]
	v_fma_f64 v[48:49], v[76:77], s[6:7], v[48:49]
	;; [unrolled: 1-line block ×8, first 2 shown]
	v_add_f64 v[74:75], v[26:27], v[22:23]
	v_fma_f64 v[86:87], v[20:21], s[6:7], v[52:53]
	v_fma_f64 v[52:53], v[20:21], s[0:1], v[52:53]
	;; [unrolled: 1-line block ×8, first 2 shown]
	v_add_f64 v[0:1], v[96:97], v[0:1]
	v_add_f64 v[72:73], v[38:39], v[40:41]
	v_fma_f64 v[84:85], v[70:71], s[6:7], v[36:37]
	v_fma_f64 v[70:71], v[70:71], s[0:1], v[36:37]
	ds_write2_b64 v139, v[8:9], v[56:57] offset1:17
	ds_write_b64 v139, v[28:29] offset:272
	ds_write2_b64 v108, v[54:55], v[42:43] offset1:17
	ds_write_b64 v108, v[48:49] offset:272
	;; [unrolled: 2-line block ×5, first 2 shown]
	s_waitcnt lgkmcnt(0)
	s_barrier
	buffer_gl0_inv
	ds_read2_b64 v[18:21], v143 offset1:119
	ds_read2_b64 v[6:9], v148 offset0:110 offset1:229
	ds_read2_b64 v[22:25], v146 offset0:74 offset1:193
	;; [unrolled: 1-line block ×6, first 2 shown]
	ds_read_b64 v[0:1], v143 offset:13328
	s_waitcnt lgkmcnt(0)
	s_barrier
	buffer_gl0_inv
	ds_write2_b64 v139, v[14:15], v[76:77] offset1:17
	ds_write_b64 v139, v[46:47] offset:272
	ds_write2_b64 v108, v[74:75], v[86:87] offset1:17
	ds_write_b64 v108, v[52:53] offset:272
	ds_write2_b64 v141, v[44:45], v[78:79] offset1:17
	ds_write_b64 v141, v[16:17] offset:272
	ds_write2_b64 v150, v[50:51], v[80:81] offset1:17
	ds_write_b64 v150, v[82:83] offset:272
	ds_write2_b64 v133, v[72:73], v[84:85] offset1:17
	ds_write_b64 v133, v[70:71] offset:272
	s_waitcnt lgkmcnt(0)
	s_barrier
	buffer_gl0_inv
	s_clause 0x3
	global_load_dwordx4 v[42:45], v138, s[8:9] offset:544
	global_load_dwordx4 v[46:49], v138, s[8:9] offset:560
	;; [unrolled: 1-line block ×4, first 2 shown]
	v_lshlrev_b32_sdwa v14, v132, v168 dst_sel:DWORD dst_unused:UNUSED_PAD src0_sel:DWORD src1_sel:BYTE_0
	v_lshlrev_b32_sdwa v15, v132, v167 dst_sel:DWORD dst_unused:UNUSED_PAD src0_sel:DWORD src1_sel:WORD_0
	s_clause 0x7
	global_load_dwordx4 v[72:75], v14, s[8:9] offset:544
	global_load_dwordx4 v[84:87], v14, s[8:9] offset:560
	;; [unrolled: 1-line block ×8, first 2 shown]
	ds_read2_b64 v[14:17], v148 offset0:110 offset1:229
	ds_read2_b64 v[114:117], v146 offset0:74 offset1:193
	;; [unrolled: 1-line block ×6, first 2 shown]
	ds_read_b64 v[126:127], v143 offset:13328
	s_mov_b32 s6, 0x134454ff
	s_mov_b32 s7, 0xbfee6f0e
	;; [unrolled: 1-line block ×3, first 2 shown]
	v_cmp_gt_u32_e64 s0, 17, v142
	s_waitcnt vmcnt(10) lgkmcnt(5)
	v_mul_f64 v[60:61], v[114:115], v[48:49]
	v_mul_f64 v[58:59], v[16:17], v[44:45]
	s_waitcnt vmcnt(8) lgkmcnt(4)
	v_mul_f64 v[62:63], v[120:121], v[56:57]
	s_waitcnt lgkmcnt(3)
	v_mul_f64 v[64:65], v[122:123], v[52:53]
	s_waitcnt vmcnt(7) lgkmcnt(2)
	v_mul_f64 v[66:67], v[132:133], v[74:75]
	s_waitcnt vmcnt(6)
	v_mul_f64 v[68:69], v[116:117], v[86:87]
	s_waitcnt vmcnt(5) lgkmcnt(1)
	v_mul_f64 v[70:71], v[138:139], v[90:91]
	s_waitcnt vmcnt(4)
	v_mul_f64 v[76:77], v[124:125], v[94:95]
	s_waitcnt vmcnt(2)
	;; [unrolled: 2-line block ×3, first 2 shown]
	v_mul_f64 v[152:153], v[140:141], v[108:109]
	v_mul_f64 v[96:97], v[134:135], v[100:101]
	s_waitcnt vmcnt(0) lgkmcnt(0)
	v_mul_f64 v[154:155], v[126:127], v[112:113]
	v_mul_f64 v[44:45], v[8:9], v[44:45]
	;; [unrolled: 1-line block ×11, first 2 shown]
	v_fma_f64 v[80:81], v[22:23], v[46:47], v[60:61]
	v_fma_f64 v[78:79], v[8:9], v[42:43], v[58:59]
	;; [unrolled: 1-line block ×10, first 2 shown]
	v_mul_f64 v[104:105], v[26:27], v[104:105]
	v_mul_f64 v[108:109], v[40:41], v[108:109]
	v_fma_f64 v[68:69], v[36:37], v[98:99], v[96:97]
	v_fma_f64 v[76:77], v[0:1], v[110:111], v[154:155]
	v_fma_f64 v[96:97], v[16:17], v[42:43], -v[44:45]
	v_fma_f64 v[8:9], v[122:123], v[50:51], -v[52:53]
	;; [unrolled: 1-line block ×10, first 2 shown]
	v_add_f64 v[0:1], v[80:81], v[82:83]
	v_add_f64 v[16:17], v[78:79], v[86:87]
	;; [unrolled: 1-line block ×6, first 2 shown]
	v_add_f64 v[36:37], v[78:79], -v[80:81]
	v_add_f64 v[26:27], v[62:63], v[70:71]
	v_fma_f64 v[84:85], v[118:119], v[102:103], -v[104:105]
	v_fma_f64 v[92:93], v[140:141], v[106:107], -v[108:109]
	v_add_f64 v[44:45], v[6:7], v[68:69]
	v_add_f64 v[28:29], v[68:69], v[76:77]
	v_add_f64 v[38:39], v[86:87], -v[82:83]
	v_add_f64 v[32:33], v[96:97], -v[8:9]
	;; [unrolled: 1-line block ×10, first 2 shown]
	v_fma_f64 v[0:1], v[0:1], -0.5, v[18:19]
	v_fma_f64 v[16:17], v[16:17], -0.5, v[18:19]
	v_add_f64 v[18:19], v[72:73], -v[56:57]
	v_add_f64 v[30:31], v[30:31], v[80:81]
	v_fma_f64 v[22:23], v[22:23], -0.5, v[20:21]
	v_fma_f64 v[20:21], v[24:25], -0.5, v[20:21]
	v_add_f64 v[42:43], v[42:43], v[60:61]
	v_fma_f64 v[26:27], v[26:27], -0.5, v[6:7]
	v_add_f64 v[104:105], v[68:69], -v[62:63]
	v_add_f64 v[24:25], v[84:85], -v[92:93]
	;; [unrolled: 1-line block ×3, first 2 shown]
	v_fma_f64 v[6:7], v[28:29], -0.5, v[6:7]
	v_add_f64 v[28:29], v[82:83], -v[86:87]
	v_add_f64 v[44:45], v[44:45], v[62:63]
	v_add_f64 v[108:109], v[62:63], -v[68:69]
	v_add_f64 v[110:111], v[70:71], -v[76:77]
	v_add_f64 v[36:37], v[36:37], v[38:39]
                                        ; implicit-def: $vgpr132_vgpr133
	v_add_f64 v[38:39], v[50:51], v[98:99]
	v_fma_f64 v[112:113], v[32:33], s[6:7], v[0:1]
	v_fma_f64 v[0:1], v[32:33], s[16:17], v[0:1]
	;; [unrolled: 1-line block ×10, first 2 shown]
	v_add_f64 v[30:31], v[30:31], v[82:83]
	v_fma_f64 v[122:123], v[24:25], s[16:17], v[6:7]
	v_fma_f64 v[6:7], v[24:25], s[6:7], v[6:7]
	v_add_f64 v[28:29], v[40:41], v[28:29]
	v_add_f64 v[40:41], v[100:101], v[102:103]
	;; [unrolled: 1-line block ×6, first 2 shown]
	v_mul_u32_u24_e32 v104, 0x7f8, v164
	v_fma_f64 v[100:101], v[34:35], s[10:11], v[112:113]
	v_fma_f64 v[0:1], v[34:35], s[12:13], v[0:1]
	;; [unrolled: 1-line block ×10, first 2 shown]
	v_add_f64 v[30:31], v[30:31], v[86:87]
	v_fma_f64 v[102:103], v[48:49], s[10:11], v[122:123]
	v_fma_f64 v[6:7], v[48:49], s[12:13], v[6:7]
	v_mov_b32_e32 v26, 0x7f8
	v_add_f64 v[42:43], v[42:43], v[74:75]
	v_add_f64 v[44:45], v[44:45], v[76:77]
	v_mul_u32_u24_sdwa v27, v163, v26 dst_sel:DWORD dst_unused:UNUSED_PAD src0_sel:WORD_0 src1_sel:DWORD
	v_fma_f64 v[48:49], v[36:37], s[18:19], v[100:101]
	v_fma_f64 v[36:37], v[36:37], s[18:19], v[0:1]
	v_fma_f64 v[34:35], v[28:29], s[18:19], v[34:35]
	v_fma_f64 v[16:17], v[28:29], s[18:19], v[16:17]
	v_fma_f64 v[28:29], v[38:39], s[18:19], v[32:33]
	v_fma_f64 v[18:19], v[38:39], s[18:19], v[18:19]
	v_fma_f64 v[22:23], v[40:41], s[18:19], v[22:23]
	v_fma_f64 v[20:21], v[40:41], s[18:19], v[20:21]
	v_fma_f64 v[32:33], v[50:51], s[18:19], v[46:47]
	v_fma_f64 v[0:1], v[50:51], s[18:19], v[24:25]
	v_lshlrev_b32_sdwa v25, v162, v166 dst_sel:DWORD dst_unused:UNUSED_PAD src0_sel:DWORD src1_sel:BYTE_0
	v_fma_f64 v[38:39], v[98:99], s[18:19], v[102:103]
	v_fma_f64 v[6:7], v[98:99], s[18:19], v[6:7]
	v_mul_u32_u24_sdwa v24, v165, v26 dst_sel:DWORD dst_unused:UNUSED_PAD src0_sel:WORD_0 src1_sel:DWORD
	v_lshlrev_b32_sdwa v40, v162, v168 dst_sel:DWORD dst_unused:UNUSED_PAD src0_sel:DWORD src1_sel:BYTE_0
	v_lshlrev_b32_sdwa v26, v162, v167 dst_sel:DWORD dst_unused:UNUSED_PAD src0_sel:DWORD src1_sel:WORD_0
	v_add3_u32 v100, 0, v27, v25
	v_add3_u32 v99, 0, v24, v40
	;; [unrolled: 1-line block ×3, first 2 shown]
	ds_read2_b64 v[24:27], v143 offset1:119
	s_waitcnt lgkmcnt(0)
	s_barrier
	buffer_gl0_inv
	ds_write2_b64 v100, v[30:31], v[48:49] offset1:51
	ds_write2_b64 v100, v[34:35], v[16:17] offset0:102 offset1:153
	ds_write_b64 v100, v[36:37] offset:1632
	ds_write2_b64 v99, v[42:43], v[28:29] offset1:51
	ds_write2_b64 v99, v[22:23], v[20:21] offset0:102 offset1:153
	ds_write_b64 v99, v[18:19] offset:1632
	;; [unrolled: 3-line block ×3, first 2 shown]
	s_waitcnt lgkmcnt(0)
	s_barrier
	buffer_gl0_inv
	ds_read2_b64 v[20:23], v143 offset1:119
	ds_read2_b64 v[28:31], v148 offset0:127 offset1:246
	ds_read2_b64 v[40:43], v145 offset0:126 offset1:245
	;; [unrolled: 1-line block ×6, first 2 shown]
                                        ; implicit-def: $vgpr18_vgpr19
	s_and_saveexec_b32 s1, s0
	s_cbranch_execz .LBB0_17
; %bb.16:
	v_add_nc_u32_e32 v0, 0x770, v143
	v_add_nc_u32_e32 v4, 0x1760, v143
	;; [unrolled: 1-line block ×3, first 2 shown]
	ds_read2_b64 v[0:3], v0 offset1:255
	ds_read2_b64 v[4:7], v4 offset1:255
	;; [unrolled: 1-line block ×3, first 2 shown]
	ds_read_b64 v[132:133], v143 offset:14144
.LBB0_17:
	s_or_b32 exec_lo, exec_lo, s1
	v_add_f64 v[101:102], v[58:59], v[54:55]
	v_add_f64 v[103:104], v[96:97], v[8:9]
	;; [unrolled: 1-line block ×7, first 2 shown]
	v_add_f64 v[78:79], v[78:79], -v[86:87]
	v_add_f64 v[115:116], v[26:27], v[90:91]
	v_add_f64 v[117:118], v[14:15], v[88:89]
	v_add_f64 v[80:81], v[80:81], -v[82:83]
	v_add_f64 v[64:65], v[64:65], -v[74:75]
	v_add_f64 v[60:61], v[60:61], -v[66:67]
	v_add_f64 v[68:69], v[68:69], -v[76:77]
	v_add_f64 v[62:63], v[62:63], -v[70:71]
	v_add_f64 v[82:83], v[96:97], -v[58:59]
	v_add_f64 v[86:87], v[8:9], -v[54:55]
	v_add_f64 v[96:97], v[58:59], -v[96:97]
	v_add_f64 v[76:77], v[90:91], -v[72:73]
	v_add_f64 v[90:91], v[72:73], -v[90:91]
	v_add_f64 v[74:75], v[54:55], -v[8:9]
	s_waitcnt lgkmcnt(0)
	v_fma_f64 v[101:102], v[101:102], -0.5, v[24:25]
	v_fma_f64 v[24:25], v[103:104], -0.5, v[24:25]
	;; [unrolled: 1-line block ×6, first 2 shown]
	v_add_f64 v[107:108], v[88:89], -v[84:85]
	v_add_f64 v[88:89], v[84:85], -v[88:89]
	v_add_f64 v[58:59], v[113:114], v[58:59]
	v_add_f64 v[72:73], v[115:116], v[72:73]
	;; [unrolled: 1-line block ×3, first 2 shown]
	v_add_f64 v[103:104], v[52:53], -v[56:57]
	v_add_f64 v[105:106], v[56:57], -v[52:53]
	;; [unrolled: 1-line block ×4, first 2 shown]
	s_barrier
	v_add_f64 v[82:83], v[82:83], v[86:87]
	buffer_gl0_inv
                                        ; implicit-def: $vgpr134_vgpr135
	v_add_f64 v[74:75], v[96:97], v[74:75]
	v_fma_f64 v[113:114], v[78:79], s[16:17], v[101:102]
	v_fma_f64 v[115:116], v[80:81], s[6:7], v[24:25]
	;; [unrolled: 1-line block ×12, first 2 shown]
	v_add_f64 v[54:55], v[58:59], v[54:55]
	v_add_f64 v[56:57], v[72:73], v[56:57]
	;; [unrolled: 1-line block ×7, first 2 shown]
	v_fma_f64 v[72:73], v[80:81], s[12:13], v[113:114]
	v_fma_f64 v[84:85], v[78:79], s[12:13], v[115:116]
	;; [unrolled: 1-line block ×12, first 2 shown]
	v_add_f64 v[54:55], v[54:55], v[8:9]
	v_add_f64 v[52:53], v[56:57], v[52:53]
	v_add_f64 v[56:57], v[58:59], v[94:95]
	v_fma_f64 v[58:59], v[82:83], s[18:19], v[72:73]
	v_fma_f64 v[70:71], v[74:75], s[18:19], v[84:85]
	;; [unrolled: 1-line block ×12, first 2 shown]
	v_add_nc_u32_e32 v62, 0x400, v143
	v_add_nc_u32_e32 v63, 0xc00, v143
	;; [unrolled: 1-line block ×6, first 2 shown]
	ds_write2_b64 v100, v[54:55], v[58:59] offset1:51
	ds_write2_b64 v100, v[70:71], v[24:25] offset0:102 offset1:153
	ds_write_b64 v100, v[68:69] offset:1632
	ds_write2_b64 v99, v[52:53], v[72:73] offset1:51
	ds_write2_b64 v99, v[66:67], v[26:27] offset0:102 offset1:153
	ds_write_b64 v99, v[60:61] offset:1632
	;; [unrolled: 3-line block ×3, first 2 shown]
	s_waitcnt lgkmcnt(0)
	s_barrier
	buffer_gl0_inv
	ds_read2_b64 v[52:55], v143 offset1:119
	ds_read2_b64 v[56:59], v62 offset0:127 offset1:246
	ds_read2_b64 v[72:75], v63 offset0:126 offset1:245
	ds_read2_b64 v[60:63], v76 offset0:125 offset1:244
	ds_read2_b64 v[64:67], v77 offset0:124 offset1:243
	ds_read2_b64 v[76:79], v78 offset0:123 offset1:242
	ds_read2_b64 v[68:71], v80 offset0:122 offset1:241
                                        ; implicit-def: $vgpr26_vgpr27
	s_and_saveexec_b32 s1, s0
	s_cbranch_execz .LBB0_19
; %bb.18:
	v_add_nc_u32_e32 v8, 0x770, v143
	v_add_nc_u32_e32 v12, 0x1760, v143
	;; [unrolled: 1-line block ×3, first 2 shown]
	ds_read2_b64 v[8:11], v8 offset1:255
	ds_read2_b64 v[12:15], v12 offset1:255
	ds_read2_b64 v[24:27], v24 offset1:255
	ds_read_b64 v[134:135], v143 offset:14144
.LBB0_19:
	s_or_b32 exec_lo, exec_lo, s1
	s_and_saveexec_b32 s1, vcc_lo
	s_cbranch_execz .LBB0_22
; %bb.20:
	v_mul_u32_u24_e32 v80, 6, v137
	v_mul_lo_u32 v151, s5, v130
	v_mul_lo_u32 v152, s4, v131
	v_mad_u64_u32 v[130:131], null, s4, v130, 0
	v_lshlrev_b32_e32 v80, 4, v80
	v_add_nc_u32_e32 v155, 0xff, v142
	v_add_nc_u32_e32 v156, 0x1fe, v142
	;; [unrolled: 1-line block ×4, first 2 shown]
	v_add_co_u32 v98, s1, s8, v80
	v_mul_u32_u24_e32 v80, 6, v142
	v_add_co_ci_u32_e64 v99, null, s9, 0, s1
	v_add_co_u32 v96, vcc_lo, 0x800, v98
	v_lshlrev_b32_e32 v100, 4, v80
	v_add_co_ci_u32_e32 v97, vcc_lo, 0, v99, vcc_lo
	v_add_co_u32 v88, vcc_lo, 0xee0, v98
	v_add_co_u32 v108, s1, s8, v100
	v_add_co_ci_u32_e32 v89, vcc_lo, 0, v99, vcc_lo
	v_add_co_u32 v98, vcc_lo, 0xf20, v98
	v_add_co_ci_u32_e64 v109, null, s9, 0, s1
	v_add_co_ci_u32_e32 v99, vcc_lo, 0, v99, vcc_lo
	v_add_co_u32 v112, vcc_lo, 0xee0, v108
	v_add_co_ci_u32_e32 v113, vcc_lo, 0, v109, vcc_lo
	v_add_co_u32 v114, vcc_lo, 0x800, v108
	;; [unrolled: 2-line block ×3, first 2 shown]
	v_add_co_ci_u32_e32 v125, vcc_lo, 0, v109, vcc_lo
	s_clause 0xb
	global_load_dwordx4 v[80:83], v[96:97], off offset:1760
	global_load_dwordx4 v[84:87], v[88:89], off offset:48
	global_load_dwordx4 v[92:95], v[88:89], off offset:32
	global_load_dwordx4 v[88:91], v[88:89], off offset:16
	global_load_dwordx4 v[100:103], v[96:97], off offset:1824
	global_load_dwordx4 v[96:99], v[98:99], off offset:16
	global_load_dwordx4 v[104:107], v[112:113], off offset:48
	global_load_dwordx4 v[108:111], v[112:113], off offset:32
	global_load_dwordx4 v[116:119], v[112:113], off offset:16
	global_load_dwordx4 v[120:123], v[114:115], off offset:1824
	global_load_dwordx4 v[112:115], v[114:115], off offset:1760
	global_load_dwordx4 v[124:127], v[124:125], off offset:16
	v_add_nc_u32_e32 v159, 0x4fb, v142
	v_mad_u64_u32 v[138:139], null, s2, v142, 0
	v_add_nc_u32_e32 v160, 0x5fa, v142
	v_mul_hi_u32 v153, 0x80808081, v137
	v_mad_u64_u32 v[140:141], null, s2, v155, 0
	v_mad_u64_u32 v[143:144], null, s2, v156, 0
	;; [unrolled: 1-line block ×4, first 2 shown]
	v_add3_u32 v131, v131, v152, v151
	v_mad_u64_u32 v[149:150], null, s2, v159, 0
	v_mad_u64_u32 v[151:152], null, s2, v160, 0
	v_lshrrev_b32_e32 v161, 7, v153
	v_mad_u64_u32 v[153:154], null, s3, v142, v[139:140]
	v_lshlrev_b64 v[130:131], 4, v[130:131]
	v_mov_b32_e32 v139, v141
	v_mov_b32_e32 v141, v144
	;; [unrolled: 1-line block ×5, first 2 shown]
	v_lshlrev_b64 v[128:129], 4, v[128:129]
	v_mov_b32_e32 v150, v152
	v_mad_u64_u32 v[154:155], null, s3, v155, v[139:140]
	v_mad_u32_u24 v172, 0x5fa, v161, v137
	v_mad_u64_u32 v[155:156], null, s3, v156, v[141:142]
	v_add_co_u32 v137, vcc_lo, s14, v130
	v_mad_u64_u32 v[156:157], null, s3, v157, v[144:145]
	v_mad_u64_u32 v[157:158], null, s3, v158, v[146:147]
	v_add_co_ci_u32_e32 v141, vcc_lo, s15, v131, vcc_lo
	v_mad_u64_u32 v[158:159], null, s3, v159, v[148:149]
	v_mad_u64_u32 v[159:160], null, s3, v160, v[150:151]
	;; [unrolled: 1-line block ×3, first 2 shown]
	v_add_nc_u32_e32 v173, 0xff, v172
	v_add_nc_u32_e32 v174, 0x1fe, v172
	v_add_co_u32 v128, vcc_lo, v137, v128
	v_add_nc_u32_e32 v175, 0x2fd, v172
	v_add_nc_u32_e32 v176, 0x3fc, v172
	;; [unrolled: 1-line block ×4, first 2 shown]
	v_add_co_ci_u32_e32 v129, vcc_lo, v141, v129, vcc_lo
	v_mov_b32_e32 v141, v154
	v_mov_b32_e32 v139, v153
	v_mad_u64_u32 v[130:131], null, s2, v173, 0
	v_mad_u64_u32 v[162:163], null, s2, v174, 0
	;; [unrolled: 1-line block ×6, first 2 shown]
	v_lshlrev_b64 v[140:141], 4, v[140:141]
	v_lshlrev_b64 v[137:138], 4, v[138:139]
	v_mov_b32_e32 v139, v161
	v_mov_b32_e32 v150, v158
	;; [unrolled: 1-line block ×3, first 2 shown]
	v_mad_u64_u32 v[158:159], null, s3, v173, v[131:132]
	v_mad_u64_u32 v[153:154], null, s3, v172, v[139:140]
	v_mov_b32_e32 v139, v163
	v_mov_b32_e32 v144, v155
	;; [unrolled: 1-line block ×8, first 2 shown]
	v_mad_u64_u32 v[171:172], null, s3, v174, v[139:140]
	v_mad_u64_u32 v[172:173], null, s3, v175, v[154:155]
	;; [unrolled: 1-line block ×5, first 2 shown]
	v_mov_b32_e32 v161, v153
	v_mov_b32_e32 v163, v171
	;; [unrolled: 1-line block ×5, first 2 shown]
	v_lshlrev_b64 v[159:160], 4, v[160:161]
	v_mov_b32_e32 v171, v156
	v_mov_b32_e32 v131, v158
	v_lshlrev_b64 v[153:154], 4, v[162:163]
	v_lshlrev_b64 v[155:156], 4, v[164:165]
	;; [unrolled: 1-line block ×5, first 2 shown]
	s_mov_b32 s24, 0xe976ee23
	s_mov_b32 s22, 0x36b3c0b5
	;; [unrolled: 1-line block ×20, first 2 shown]
	v_lshlrev_b64 v[143:144], 4, v[143:144]
	v_add_co_u32 v137, vcc_lo, v128, v137
	v_add_co_ci_u32_e32 v138, vcc_lo, v129, v138, vcc_lo
	v_lshlrev_b64 v[145:146], 4, v[145:146]
	v_add_co_u32 v139, vcc_lo, v128, v140
	v_add_co_ci_u32_e32 v140, vcc_lo, v129, v141, vcc_lo
	;; [unrolled: 3-line block ×5, first 2 shown]
	v_add_co_u32 v149, vcc_lo, v128, v149
	v_add_co_ci_u32_e32 v150, vcc_lo, v129, v150, vcc_lo
	v_add_co_u32 v151, vcc_lo, v128, v151
	v_lshlrev_b64 v[130:131], 4, v[130:131]
	v_add_co_ci_u32_e32 v152, vcc_lo, v129, v152, vcc_lo
	v_add_co_u32 v159, vcc_lo, v128, v159
	v_add_co_ci_u32_e32 v160, vcc_lo, v129, v160, vcc_lo
	v_add_co_u32 v130, vcc_lo, v128, v130
	;; [unrolled: 2-line block ×3, first 2 shown]
	v_add_co_ci_u32_e32 v154, vcc_lo, v129, v154, vcc_lo
	s_waitcnt vmcnt(11)
	v_mul_f64 v[173:174], v[30:31], v[80:81]
	s_waitcnt vmcnt(10)
	v_mul_f64 v[165:166], v[38:39], v[84:85]
	;; [unrolled: 2-line block ×6, first 2 shown]
	v_mul_f64 v[34:35], v[34:35], v[94:95]
	v_mul_f64 v[38:39], v[38:39], v[86:87]
	;; [unrolled: 1-line block ×6, first 2 shown]
	s_waitcnt vmcnt(3)
	v_mul_f64 v[181:182], v[40:41], v[116:117]
	s_waitcnt vmcnt(2)
	v_mul_f64 v[183:184], v[48:49], v[120:121]
	;; [unrolled: 2-line block ×4, first 2 shown]
	v_mul_f64 v[40:41], v[40:41], v[118:119]
	v_mul_f64 v[48:49], v[48:49], v[122:123]
	;; [unrolled: 1-line block ×8, first 2 shown]
	s_waitcnt lgkmcnt(2)
	v_fma_f64 v[86:87], v[66:67], v[86:87], v[165:166]
	v_fma_f64 v[94:95], v[62:63], v[94:95], v[167:168]
	;; [unrolled: 1-line block ×3, first 2 shown]
	s_waitcnt lgkmcnt(1)
	v_fma_f64 v[102:103], v[78:79], v[102:103], v[171:172]
	s_waitcnt lgkmcnt(0)
	v_fma_f64 v[98:99], v[70:71], v[98:99], v[175:176]
	v_fma_f64 v[34:35], v[62:63], v[92:93], -v[34:35]
	v_fma_f64 v[38:39], v[66:67], v[84:85], -v[38:39]
	v_fma_f64 v[42:43], v[74:75], v[88:89], -v[42:43]
	v_fma_f64 v[50:51], v[78:79], v[100:101], -v[50:51]
	v_fma_f64 v[30:31], v[58:59], v[80:81], -v[30:31]
	v_fma_f64 v[46:47], v[70:71], v[96:97], -v[46:47]
	v_fma_f64 v[66:67], v[72:73], v[118:119], v[181:182]
	v_fma_f64 v[70:71], v[76:77], v[122:123], v[183:184]
	;; [unrolled: 1-line block ×3, first 2 shown]
	v_fma_f64 v[40:41], v[72:73], v[116:117], -v[40:41]
	v_fma_f64 v[48:49], v[76:77], v[120:121], -v[48:49]
	;; [unrolled: 1-line block ×4, first 2 shown]
	v_fma_f64 v[56:57], v[56:57], v[114:115], v[185:186]
	v_fma_f64 v[68:69], v[68:69], v[126:127], v[187:188]
	;; [unrolled: 1-line block ×4, first 2 shown]
	v_fma_f64 v[32:33], v[60:61], v[108:109], -v[32:33]
	v_fma_f64 v[36:37], v[64:65], v[104:105], -v[36:37]
	v_add_f64 v[60:61], v[86:87], -v[94:95]
	v_add_f64 v[64:65], v[90:91], -v[102:103]
	v_add_f64 v[84:85], v[86:87], v[94:95]
	v_add_f64 v[86:87], v[90:91], v[102:103]
	;; [unrolled: 1-line block ×3, first 2 shown]
	v_add_f64 v[34:35], v[38:39], -v[34:35]
	v_add_f64 v[76:77], v[42:43], v[50:51]
	v_add_f64 v[38:39], v[42:43], -v[50:51]
	v_add_f64 v[78:79], v[30:31], v[46:47]
	v_add_f64 v[30:31], v[30:31], -v[46:47]
	v_add_f64 v[88:89], v[66:67], -v[70:71]
	v_add_f64 v[66:67], v[66:67], v[70:71]
	v_add_f64 v[72:73], v[82:83], -v[98:99]
	v_add_f64 v[42:43], v[40:41], v[48:49]
	v_add_f64 v[82:83], v[82:83], v[98:99]
	;; [unrolled: 1-line block ×3, first 2 shown]
	v_add_f64 v[28:29], v[28:29], -v[44:45]
	v_add_f64 v[90:91], v[56:57], -v[68:69]
	v_add_f64 v[56:57], v[56:57], v[68:69]
	v_add_f64 v[50:51], v[58:59], -v[62:63]
	v_add_f64 v[58:59], v[58:59], v[62:63]
	v_add_f64 v[92:93], v[36:37], v[32:33]
	v_add_f64 v[32:33], v[36:37], -v[32:33]
	v_add_f64 v[36:37], v[40:41], -v[48:49]
	v_add_f64 v[40:41], v[60:61], v[64:65]
	v_add_f64 v[44:45], v[60:61], -v[64:65]
	v_add_f64 v[70:71], v[84:85], -v[86:87]
	v_add_co_u32 v80, vcc_lo, v128, v155
	v_add_f64 v[98:99], v[34:35], v[38:39]
	v_add_f64 v[68:69], v[76:77], v[78:79]
	v_add_f64 v[100:101], v[34:35], -v[38:39]
	v_add_f64 v[104:105], v[30:31], -v[34:35]
	v_add_f64 v[62:63], v[78:79], -v[74:75]
	v_add_f64 v[48:49], v[72:73], -v[60:61]
	v_add_f64 v[60:61], v[74:75], -v[76:77]
	v_add_f64 v[96:97], v[86:87], v[82:83]
	v_add_f64 v[102:103], v[42:43], v[46:47]
	v_add_f64 v[94:95], v[82:83], -v[84:85]
	v_add_f64 v[64:65], v[64:65], -v[72:73]
	v_add_f64 v[34:35], v[66:67], v[56:57]
	v_add_f64 v[76:77], v[76:77], -v[78:79]
	v_add_f64 v[78:79], v[86:87], -v[82:83]
	;; [unrolled: 1-line block ×3, first 2 shown]
	v_add_f64 v[82:83], v[50:51], v[88:89]
	v_add_f64 v[86:87], v[50:51], -v[88:89]
	v_add_f64 v[106:107], v[92:93], -v[42:43]
	;; [unrolled: 1-line block ×7, first 2 shown]
	v_add_f64 v[68:69], v[74:75], v[68:69]
	v_add_f64 v[74:75], v[88:89], -v[90:91]
	v_add_f64 v[46:47], v[66:67], -v[56:57]
	v_add_f64 v[114:115], v[32:33], v[36:37]
	v_add_f64 v[36:37], v[36:37], -v[28:29]
	v_add_f64 v[50:51], v[90:91], -v[50:51]
	v_add_f64 v[84:85], v[84:85], v[96:97]
	v_add_f64 v[56:57], v[92:93], v[102:103]
	v_add_f64 v[118:119], v[28:29], -v[32:33]
	v_add_f64 v[40:41], v[40:41], v[72:73]
	v_add_f64 v[58:59], v[58:59], v[34:35]
	v_mul_f64 v[44:45], v[44:45], s[24:25]
	v_mul_f64 v[66:67], v[60:61], s[22:23]
	;; [unrolled: 1-line block ×6, first 2 shown]
	v_add_f64 v[96:97], v[98:99], v[30:31]
	v_mul_f64 v[98:99], v[38:39], s[20:21]
	v_add_f64 v[82:83], v[82:83], v[90:91]
	v_mul_f64 v[86:87], v[86:87], s[24:25]
	v_mul_f64 v[90:91], v[106:107], s[22:23]
	;; [unrolled: 1-line block ×3, first 2 shown]
	v_add_f64 v[30:31], v[54:55], v[68:69]
	v_mul_f64 v[102:103], v[112:113], s[26:27]
	v_mul_f64 v[108:109], v[74:75], s[20:21]
	v_add_f64 v[112:113], v[114:115], v[28:29]
	v_mul_f64 v[114:115], v[36:37], s[20:21]
	v_mul_f64 v[54:55], v[110:111], s[22:23]
	;; [unrolled: 3-line block ×3, first 2 shown]
	v_add_f64 v[32:33], v[20:21], v[58:59]
	v_add_f64 v[28:29], v[22:23], v[84:85]
	v_fma_f64 v[116:117], v[48:49], s[16:17], v[44:45]
	v_fma_f64 v[60:61], v[60:61], s[22:23], v[62:63]
	;; [unrolled: 1-line block ×4, first 2 shown]
	v_fma_f64 v[22:23], v[48:49], s[18:19], -v[92:93]
	v_fma_f64 v[48:49], v[76:77], s[12:13], -v[62:63]
	;; [unrolled: 1-line block ×7, first 2 shown]
	v_fma_f64 v[64:65], v[50:51], s[16:17], v[86:87]
	v_fma_f64 v[68:69], v[68:69], s[6:7], v[30:31]
	;; [unrolled: 1-line block ×4, first 2 shown]
	v_fma_f64 v[50:51], v[50:51], s[18:19], -v[108:109]
	v_fma_f64 v[74:75], v[74:75], s[20:21], -v[86:87]
	v_fma_f64 v[56:57], v[56:57], s[6:7], v[34:35]
	v_fma_f64 v[86:87], v[42:43], s[12:13], -v[100:101]
	v_fma_f64 v[42:43], v[42:43], s[10:11], -v[90:91]
	v_fma_f64 v[90:91], v[118:119], s[16:17], v[52:53]
	v_fma_f64 v[36:37], v[36:37], s[20:21], -v[52:53]
	v_fma_f64 v[52:53], v[58:59], s[6:7], v[32:33]
	v_fma_f64 v[92:93], v[118:119], s[18:19], -v[114:115]
	v_fma_f64 v[58:59], v[46:47], s[12:13], -v[102:103]
	;; [unrolled: 1-line block ×4, first 2 shown]
	v_fma_f64 v[78:79], v[84:85], s[6:7], v[28:29]
	v_fma_f64 v[84:85], v[40:41], s[4:5], v[116:117]
	;; [unrolled: 1-line block ×7, first 2 shown]
	v_add_f64 v[100:101], v[60:61], v[68:69]
	v_add_f64 v[48:49], v[48:49], v[68:69]
	;; [unrolled: 1-line block ×3, first 2 shown]
	v_fma_f64 v[64:65], v[82:83], s[4:5], v[50:51]
	v_fma_f64 v[66:67], v[82:83], s[4:5], v[74:75]
	v_add_f64 v[68:69], v[76:77], v[56:57]
	v_add_f64 v[72:73], v[86:87], v[56:57]
	;; [unrolled: 1-line block ×3, first 2 shown]
	v_fma_f64 v[76:77], v[112:113], s[4:5], v[90:91]
	v_fma_f64 v[36:37], v[112:113], s[4:5], v[36:37]
	v_add_f64 v[86:87], v[88:89], v[52:53]
	v_fma_f64 v[82:83], v[112:113], s[4:5], v[92:93]
	v_add_f64 v[88:89], v[58:59], v[52:53]
	v_add_f64 v[52:53], v[46:47], v[52:53]
	v_fma_f64 v[90:91], v[96:97], s[4:5], v[38:39]
	v_add_f64 v[92:93], v[70:71], v[78:79]
	v_add_f64 v[96:97], v[62:63], v[78:79]
	;; [unrolled: 1-line block ×3, first 2 shown]
	v_add_co_ci_u32_e32 v81, vcc_lo, v129, v156, vcc_lo
	v_add_co_u32 v104, vcc_lo, v128, v157
	v_add_f64 v[78:79], v[100:101], -v[84:85]
	v_add_f64 v[38:39], v[94:95], v[48:49]
	v_add_f64 v[42:43], v[60:61], -v[40:41]
	v_add_f64 v[46:47], v[40:41], v[60:61]
	v_add_f64 v[50:51], v[48:49], -v[94:95]
	v_add_f64 v[74:75], v[68:69], -v[44:45]
	v_add_f64 v[58:59], v[64:65], v[72:73]
	v_add_f64 v[70:71], v[72:73], -v[64:65]
	v_add_f64 v[54:55], v[44:45], v[68:69]
	;; [unrolled: 2-line block ×3, first 2 shown]
	v_add_f64 v[66:67], v[66:67], v[56:57]
	v_add_f64 v[68:69], v[82:83], v[88:89]
	v_add_f64 v[64:65], v[52:53], -v[36:37]
	v_add_f64 v[60:61], v[36:37], v[52:53]
	v_add_f64 v[56:57], v[88:89], -v[82:83]
	v_add_f64 v[52:53], v[86:87], -v[76:77]
	v_add_f64 v[76:77], v[20:21], v[92:93]
	v_add_f64 v[48:49], v[98:99], v[96:97]
	v_add_f64 v[44:45], v[102:103], -v[90:91]
	v_add_f64 v[40:41], v[90:91], v[102:103]
	v_add_f64 v[36:37], v[96:97], -v[98:99]
	;; [unrolled: 2-line block ×3, first 2 shown]
	v_add_co_ci_u32_e32 v105, vcc_lo, v129, v158, vcc_lo
	v_add_co_u32 v82, vcc_lo, v128, v161
	v_add_co_ci_u32_e32 v83, vcc_lo, v129, v162, vcc_lo
	v_add_co_u32 v84, vcc_lo, v128, v163
	v_add_co_ci_u32_e32 v85, vcc_lo, v129, v164, vcc_lo
	global_store_dwordx4 v[137:138], v[32:35], off
	global_store_dwordx4 v[139:140], v[72:75], off
	;; [unrolled: 1-line block ×14, first 2 shown]
	s_and_b32 exec_lo, exec_lo, s0
	s_cbranch_execz .LBB0_22
; %bb.21:
	v_subrev_nc_u32_e32 v20, 17, v142
	v_mov_b32_e32 v21, 0
	v_add_nc_u32_e32 v61, 0x1ed, v142
	v_add_nc_u32_e32 v63, 0x2ec, v142
	;; [unrolled: 1-line block ×3, first 2 shown]
	v_cndmask_b32_e64 v20, v20, v136, s0
	v_add_nc_u32_e32 v66, 0x4ea, v142
	v_add_nc_u32_e32 v68, 0x5e9, v142
	v_add_nc_u32_e32 v69, 0x6e8, v142
	v_mul_i32_i24_e32 v20, 6, v20
	v_lshlrev_b64 v[20:21], 4, v[20:21]
	v_add_co_u32 v20, vcc_lo, s8, v20
	v_add_co_ci_u32_e32 v21, vcc_lo, s9, v21, vcc_lo
	v_add_co_u32 v44, vcc_lo, 0xee0, v20
	v_add_co_ci_u32_e32 v45, vcc_lo, 0, v21, vcc_lo
	v_add_co_u32 v36, vcc_lo, 0x800, v20
	v_add_co_ci_u32_e32 v37, vcc_lo, 0, v21, vcc_lo
	v_add_co_u32 v32, vcc_lo, 0xf20, v20
	v_add_co_ci_u32_e32 v33, vcc_lo, 0, v21, vcc_lo
	s_clause 0x5
	global_load_dwordx4 v[20:23], v[36:37], off offset:1760
	global_load_dwordx4 v[28:31], v[44:45], off offset:16
	;; [unrolled: 1-line block ×6, first 2 shown]
	s_waitcnt vmcnt(5)
	v_mul_f64 v[48:49], v[10:11], v[22:23]
	v_mul_f64 v[22:23], v[2:3], v[22:23]
	s_waitcnt vmcnt(4)
	v_mul_f64 v[50:51], v[12:13], v[30:31]
	s_waitcnt vmcnt(3)
	;; [unrolled: 2-line block ×3, first 2 shown]
	v_mul_f64 v[54:55], v[26:27], v[38:39]
	v_mul_f64 v[30:31], v[4:5], v[30:31]
	;; [unrolled: 1-line block ×4, first 2 shown]
	s_waitcnt vmcnt(1)
	v_mul_f64 v[56:57], v[14:15], v[42:43]
	s_waitcnt vmcnt(0)
	v_mul_f64 v[58:59], v[24:25], v[46:47]
	v_mul_f64 v[42:43], v[6:7], v[42:43]
	;; [unrolled: 1-line block ×3, first 2 shown]
	v_fma_f64 v[2:3], v[2:3], v[20:21], v[48:49]
	v_fma_f64 v[10:11], v[10:11], v[20:21], -v[22:23]
	v_fma_f64 v[4:5], v[4:5], v[28:29], v[50:51]
	v_fma_f64 v[20:21], v[132:133], v[32:33], v[52:53]
	;; [unrolled: 1-line block ×3, first 2 shown]
	v_fma_f64 v[12:13], v[12:13], v[28:29], -v[30:31]
	v_fma_f64 v[22:23], v[134:135], v[32:33], -v[34:35]
	;; [unrolled: 1-line block ×3, first 2 shown]
	v_fma_f64 v[6:7], v[6:7], v[40:41], v[56:57]
	v_fma_f64 v[16:17], v[16:17], v[44:45], v[58:59]
	v_fma_f64 v[14:15], v[14:15], v[40:41], -v[42:43]
	v_fma_f64 v[24:25], v[24:25], v[44:45], -v[46:47]
	v_mad_u64_u32 v[28:29], null, s2, v136, 0
	v_mad_u64_u32 v[38:39], null, s2, v61, 0
	;; [unrolled: 1-line block ×5, first 2 shown]
	v_add_f64 v[30:31], v[2:3], v[20:21]
	v_add_f64 v[34:35], v[4:5], v[18:19]
	v_add_f64 v[4:5], v[4:5], -v[18:19]
	v_add_f64 v[32:33], v[10:11], v[22:23]
	v_add_f64 v[36:37], v[12:13], v[26:27]
	v_add_f64 v[20:21], v[2:3], -v[20:21]
	v_add_f64 v[18:19], v[6:7], v[16:17]
	v_add_f64 v[12:13], v[12:13], -v[26:27]
	;; [unrolled: 2-line block ×3, first 2 shown]
	v_add_f64 v[14:15], v[24:25], -v[14:15]
	v_add_f64 v[10:11], v[10:11], -v[22:23]
	v_mad_u64_u32 v[16:17], null, s2, v63, 0
	v_mad_u64_u32 v[24:25], null, s2, v64, 0
	v_mad_u64_u32 v[46:47], null, s3, v136, v[29:30]
	v_add_f64 v[2:3], v[34:35], v[30:31]
	v_mov_b32_e32 v29, v39
	v_add_f64 v[22:23], v[36:37], v[32:33]
	v_add_f64 v[55:56], v[4:5], -v[20:21]
	v_add_f64 v[47:48], v[30:31], -v[18:19]
	v_mov_b32_e32 v39, v41
	v_add_f64 v[49:50], v[32:33], -v[26:27]
	v_add_f64 v[51:52], v[6:7], -v[4:5]
	;; [unrolled: 1-line block ×4, first 2 shown]
	v_mad_u64_u32 v[61:62], null, s3, v61, v[29:30]
	v_add_f64 v[4:5], v[6:7], v[4:5]
	v_add_f64 v[12:13], v[14:15], v[12:13]
	v_add_f64 v[6:7], v[20:21], -v[6:7]
	v_add_f64 v[14:15], v[10:11], -v[14:15]
	;; [unrolled: 1-line block ×3, first 2 shown]
	v_mov_b32_e32 v29, v46
	v_mad_u64_u32 v[66:67], null, s3, v66, v[39:40]
	v_mov_b32_e32 v39, v61
	v_mov_b32_e32 v41, v43
	v_add_f64 v[59:60], v[18:19], v[2:3]
	v_add_f64 v[18:19], v[18:19], -v[34:35]
	v_add_f64 v[22:23], v[26:27], v[22:23]
	v_add_f64 v[26:27], v[26:27], -v[36:37]
	v_mul_f64 v[47:48], v[47:48], s[26:27]
	v_mul_f64 v[34:35], v[55:56], s[20:21]
	;; [unrolled: 1-line block ×5, first 2 shown]
	v_mov_b32_e32 v43, v45
	v_mad_u64_u32 v[67:68], null, s3, v68, v[41:42]
	v_add_f64 v[4:5], v[4:5], v[20:21]
	v_add_f64 v[10:11], v[12:13], v[10:11]
	v_mad_u64_u32 v[68:69], null, s3, v69, v[43:44]
	v_lshlrev_b64 v[28:29], 4, v[28:29]
	v_mov_b32_e32 v41, v66
	v_mov_b32_e32 v43, v67
	v_add_f64 v[0:1], v[0:1], v[59:60]
	v_mad_u64_u32 v[62:63], null, s3, v63, v[17:18]
	v_mad_u64_u32 v[63:64], null, s3, v64, v[25:26]
	v_add_f64 v[2:3], v[8:9], v[22:23]
	v_mul_f64 v[64:65], v[57:58], s[20:21]
	v_add_f64 v[8:9], v[36:37], -v[32:33]
	v_mul_f64 v[32:33], v[18:19], s[22:23]
	v_mul_f64 v[36:37], v[26:27], s[22:23]
	v_fma_f64 v[12:13], v[18:19], s[22:23], v[47:48]
	v_fma_f64 v[18:19], v[26:27], s[22:23], v[49:50]
	;; [unrolled: 1-line block ×4, first 2 shown]
	v_fma_f64 v[53:54], v[57:58], s[20:21], -v[53:54]
	v_fma_f64 v[6:7], v[6:7], s[18:19], -v[34:35]
	;; [unrolled: 1-line block ×4, first 2 shown]
	v_mov_b32_e32 v17, v62
	v_add_co_u32 v28, vcc_lo, v128, v28
	v_mov_b32_e32 v45, v68
	v_fma_f64 v[34:35], v[59:60], s[6:7], v[0:1]
	v_lshlrev_b64 v[16:17], 4, v[16:17]
	v_add_co_ci_u32_e32 v29, vcc_lo, v129, v29, vcc_lo
	v_mov_b32_e32 v25, v63
	v_fma_f64 v[22:23], v[22:23], s[6:7], v[2:3]
	v_fma_f64 v[14:15], v[14:15], s[18:19], -v[64:65]
	v_fma_f64 v[48:49], v[8:9], s[12:13], -v[49:50]
	;; [unrolled: 1-line block ×4, first 2 shown]
	v_lshlrev_b64 v[32:33], 4, v[38:39]
	v_fma_f64 v[36:37], v[4:5], s[4:5], v[20:21]
	v_fma_f64 v[26:27], v[10:11], s[4:5], v[26:27]
	;; [unrolled: 1-line block ×5, first 2 shown]
	v_add_co_u32 v32, vcc_lo, v128, v32
	v_add_co_ci_u32_e32 v33, vcc_lo, v129, v33, vcc_lo
	v_add_f64 v[54:55], v[12:13], v[34:35]
	v_add_f64 v[46:47], v[46:47], v[34:35]
	v_add_f64 v[56:57], v[18:19], v[22:23]
	v_fma_f64 v[52:53], v[10:11], s[4:5], v[14:15]
	v_add_f64 v[48:49], v[48:49], v[22:23]
	v_add_f64 v[18:19], v[30:31], v[34:35]
	;; [unrolled: 1-line block ×3, first 2 shown]
	v_lshlrev_b64 v[34:35], 4, v[40:41]
	v_lshlrev_b64 v[40:41], 4, v[42:43]
	v_lshlrev_b64 v[42:43], 4, v[44:45]
	v_add_co_u32 v44, vcc_lo, v128, v16
	v_add_co_ci_u32_e32 v45, vcc_lo, v129, v17, vcc_lo
	v_lshlrev_b64 v[30:31], 4, v[24:25]
	v_add_f64 v[4:5], v[26:27], v[54:55]
	v_add_f64 v[24:25], v[54:55], -v[26:27]
	v_add_co_u32 v30, vcc_lo, v128, v30
	v_add_co_ci_u32_e32 v31, vcc_lo, v129, v31, vcc_lo
	v_add_f64 v[6:7], v[56:57], -v[36:37]
	v_add_f64 v[8:9], v[52:53], v[46:47]
	v_add_f64 v[10:11], v[48:49], -v[50:51]
	v_add_f64 v[12:13], v[18:19], -v[38:39]
	v_add_f64 v[14:15], v[20:21], v[22:23]
	v_add_f64 v[16:17], v[38:39], v[18:19]
	v_add_f64 v[18:19], v[22:23], -v[20:21]
	v_add_f64 v[20:21], v[46:47], -v[52:53]
	v_add_f64 v[22:23], v[50:51], v[48:49]
	v_add_f64 v[26:27], v[36:37], v[56:57]
	v_add_co_u32 v34, vcc_lo, v128, v34
	v_add_co_ci_u32_e32 v35, vcc_lo, v129, v35, vcc_lo
	v_add_co_u32 v36, vcc_lo, v128, v40
	v_add_co_ci_u32_e32 v37, vcc_lo, v129, v41, vcc_lo
	;; [unrolled: 2-line block ×3, first 2 shown]
	global_store_dwordx4 v[28:29], v[0:3], off
	global_store_dwordx4 v[32:33], v[4:7], off
	;; [unrolled: 1-line block ×7, first 2 shown]
.LBB0_22:
	s_endpgm
	.section	.rodata,"a",@progbits
	.p2align	6, 0x0
	.amdhsa_kernel fft_rtc_back_len1785_factors_17_3_5_7_wgs_119_tpt_119_halfLds_dp_op_CI_CI_sbrr_dirReg
		.amdhsa_group_segment_fixed_size 0
		.amdhsa_private_segment_fixed_size 0
		.amdhsa_kernarg_size 104
		.amdhsa_user_sgpr_count 6
		.amdhsa_user_sgpr_private_segment_buffer 1
		.amdhsa_user_sgpr_dispatch_ptr 0
		.amdhsa_user_sgpr_queue_ptr 0
		.amdhsa_user_sgpr_kernarg_segment_ptr 1
		.amdhsa_user_sgpr_dispatch_id 0
		.amdhsa_user_sgpr_flat_scratch_init 0
		.amdhsa_user_sgpr_private_segment_size 0
		.amdhsa_wavefront_size32 1
		.amdhsa_uses_dynamic_stack 0
		.amdhsa_system_sgpr_private_segment_wavefront_offset 0
		.amdhsa_system_sgpr_workgroup_id_x 1
		.amdhsa_system_sgpr_workgroup_id_y 0
		.amdhsa_system_sgpr_workgroup_id_z 0
		.amdhsa_system_sgpr_workgroup_info 0
		.amdhsa_system_vgpr_workitem_id 0
		.amdhsa_next_free_vgpr 252
		.amdhsa_next_free_sgpr 60
		.amdhsa_reserve_vcc 1
		.amdhsa_reserve_flat_scratch 0
		.amdhsa_float_round_mode_32 0
		.amdhsa_float_round_mode_16_64 0
		.amdhsa_float_denorm_mode_32 3
		.amdhsa_float_denorm_mode_16_64 3
		.amdhsa_dx10_clamp 1
		.amdhsa_ieee_mode 1
		.amdhsa_fp16_overflow 0
		.amdhsa_workgroup_processor_mode 1
		.amdhsa_memory_ordered 1
		.amdhsa_forward_progress 0
		.amdhsa_shared_vgpr_count 0
		.amdhsa_exception_fp_ieee_invalid_op 0
		.amdhsa_exception_fp_denorm_src 0
		.amdhsa_exception_fp_ieee_div_zero 0
		.amdhsa_exception_fp_ieee_overflow 0
		.amdhsa_exception_fp_ieee_underflow 0
		.amdhsa_exception_fp_ieee_inexact 0
		.amdhsa_exception_int_div_zero 0
	.end_amdhsa_kernel
	.text
.Lfunc_end0:
	.size	fft_rtc_back_len1785_factors_17_3_5_7_wgs_119_tpt_119_halfLds_dp_op_CI_CI_sbrr_dirReg, .Lfunc_end0-fft_rtc_back_len1785_factors_17_3_5_7_wgs_119_tpt_119_halfLds_dp_op_CI_CI_sbrr_dirReg
                                        ; -- End function
	.section	.AMDGPU.csdata,"",@progbits
; Kernel info:
; codeLenInByte = 18288
; NumSgprs: 62
; NumVgprs: 252
; ScratchSize: 0
; MemoryBound: 1
; FloatMode: 240
; IeeeMode: 1
; LDSByteSize: 0 bytes/workgroup (compile time only)
; SGPRBlocks: 7
; VGPRBlocks: 31
; NumSGPRsForWavesPerEU: 62
; NumVGPRsForWavesPerEU: 252
; Occupancy: 4
; WaveLimiterHint : 1
; COMPUTE_PGM_RSRC2:SCRATCH_EN: 0
; COMPUTE_PGM_RSRC2:USER_SGPR: 6
; COMPUTE_PGM_RSRC2:TRAP_HANDLER: 0
; COMPUTE_PGM_RSRC2:TGID_X_EN: 1
; COMPUTE_PGM_RSRC2:TGID_Y_EN: 0
; COMPUTE_PGM_RSRC2:TGID_Z_EN: 0
; COMPUTE_PGM_RSRC2:TIDIG_COMP_CNT: 0
	.text
	.p2alignl 6, 3214868480
	.fill 48, 4, 3214868480
	.type	__hip_cuid_1df7f4aa17e9b8d6,@object ; @__hip_cuid_1df7f4aa17e9b8d6
	.section	.bss,"aw",@nobits
	.globl	__hip_cuid_1df7f4aa17e9b8d6
__hip_cuid_1df7f4aa17e9b8d6:
	.byte	0                               ; 0x0
	.size	__hip_cuid_1df7f4aa17e9b8d6, 1

	.ident	"AMD clang version 19.0.0git (https://github.com/RadeonOpenCompute/llvm-project roc-6.4.0 25133 c7fe45cf4b819c5991fe208aaa96edf142730f1d)"
	.section	".note.GNU-stack","",@progbits
	.addrsig
	.addrsig_sym __hip_cuid_1df7f4aa17e9b8d6
	.amdgpu_metadata
---
amdhsa.kernels:
  - .args:
      - .actual_access:  read_only
        .address_space:  global
        .offset:         0
        .size:           8
        .value_kind:     global_buffer
      - .offset:         8
        .size:           8
        .value_kind:     by_value
      - .actual_access:  read_only
        .address_space:  global
        .offset:         16
        .size:           8
        .value_kind:     global_buffer
      - .actual_access:  read_only
        .address_space:  global
        .offset:         24
        .size:           8
        .value_kind:     global_buffer
      - .actual_access:  read_only
        .address_space:  global
        .offset:         32
        .size:           8
        .value_kind:     global_buffer
      - .offset:         40
        .size:           8
        .value_kind:     by_value
      - .actual_access:  read_only
        .address_space:  global
        .offset:         48
        .size:           8
        .value_kind:     global_buffer
      - .actual_access:  read_only
        .address_space:  global
        .offset:         56
        .size:           8
        .value_kind:     global_buffer
      - .offset:         64
        .size:           4
        .value_kind:     by_value
      - .actual_access:  read_only
        .address_space:  global
        .offset:         72
        .size:           8
        .value_kind:     global_buffer
      - .actual_access:  read_only
        .address_space:  global
        .offset:         80
        .size:           8
        .value_kind:     global_buffer
      - .actual_access:  read_only
        .address_space:  global
        .offset:         88
        .size:           8
        .value_kind:     global_buffer
      - .actual_access:  write_only
        .address_space:  global
        .offset:         96
        .size:           8
        .value_kind:     global_buffer
    .group_segment_fixed_size: 0
    .kernarg_segment_align: 8
    .kernarg_segment_size: 104
    .language:       OpenCL C
    .language_version:
      - 2
      - 0
    .max_flat_workgroup_size: 119
    .name:           fft_rtc_back_len1785_factors_17_3_5_7_wgs_119_tpt_119_halfLds_dp_op_CI_CI_sbrr_dirReg
    .private_segment_fixed_size: 0
    .sgpr_count:     62
    .sgpr_spill_count: 0
    .symbol:         fft_rtc_back_len1785_factors_17_3_5_7_wgs_119_tpt_119_halfLds_dp_op_CI_CI_sbrr_dirReg.kd
    .uniform_work_group_size: 1
    .uses_dynamic_stack: false
    .vgpr_count:     252
    .vgpr_spill_count: 0
    .wavefront_size: 32
    .workgroup_processor_mode: 1
amdhsa.target:   amdgcn-amd-amdhsa--gfx1030
amdhsa.version:
  - 1
  - 2
...

	.end_amdgpu_metadata
